;; amdgpu-corpus repo=ROCm/rocFFT kind=compiled arch=gfx906 opt=O3
	.text
	.amdgcn_target "amdgcn-amd-amdhsa--gfx906"
	.amdhsa_code_object_version 6
	.protected	fft_rtc_back_len1078_factors_2_11_7_7_wgs_231_tpt_77_halfLds_dp_ip_CI_sbrr_dirReg ; -- Begin function fft_rtc_back_len1078_factors_2_11_7_7_wgs_231_tpt_77_halfLds_dp_ip_CI_sbrr_dirReg
	.globl	fft_rtc_back_len1078_factors_2_11_7_7_wgs_231_tpt_77_halfLds_dp_ip_CI_sbrr_dirReg
	.p2align	8
	.type	fft_rtc_back_len1078_factors_2_11_7_7_wgs_231_tpt_77_halfLds_dp_ip_CI_sbrr_dirReg,@function
fft_rtc_back_len1078_factors_2_11_7_7_wgs_231_tpt_77_halfLds_dp_ip_CI_sbrr_dirReg: ; @fft_rtc_back_len1078_factors_2_11_7_7_wgs_231_tpt_77_halfLds_dp_ip_CI_sbrr_dirReg
; %bb.0:
	s_load_dwordx2 s[14:15], s[4:5], 0x18
	s_load_dwordx4 s[8:11], s[4:5], 0x0
	s_load_dwordx2 s[12:13], s[4:5], 0x50
	v_mul_u32_u24_e32 v1, 0x354, v0
	v_lshrrev_b32_e32 v1, 16, v1
	s_waitcnt lgkmcnt(0)
	s_load_dwordx2 s[2:3], s[14:15], 0x0
	v_mad_u64_u32 v[1:2], s[0:1], s6, 3, v[1:2]
	v_mov_b32_e32 v5, 0
	v_cmp_lt_u64_e64 s[0:1], s[10:11], 2
	v_mov_b32_e32 v2, v5
	v_mov_b32_e32 v3, 0
	;; [unrolled: 1-line block ×3, first 2 shown]
	s_and_b64 vcc, exec, s[0:1]
	v_mov_b32_e32 v4, 0
	v_mov_b32_e32 v9, v1
	s_cbranch_vccnz .LBB0_8
; %bb.1:
	s_load_dwordx2 s[0:1], s[4:5], 0x10
	s_add_u32 s6, s14, 8
	s_addc_u32 s7, s15, 0
	v_mov_b32_e32 v3, 0
	v_mov_b32_e32 v8, v2
	s_waitcnt lgkmcnt(0)
	s_add_u32 s18, s0, 8
	s_mov_b64 s[16:17], 1
	v_mov_b32_e32 v4, 0
	s_addc_u32 s19, s1, 0
	v_mov_b32_e32 v7, v1
.LBB0_2:                                ; =>This Inner Loop Header: Depth=1
	s_load_dwordx2 s[20:21], s[18:19], 0x0
                                        ; implicit-def: $vgpr9_vgpr10
	s_waitcnt lgkmcnt(0)
	v_or_b32_e32 v6, s21, v8
	v_cmp_ne_u64_e32 vcc, 0, v[5:6]
	s_and_saveexec_b64 s[0:1], vcc
	s_xor_b64 s[22:23], exec, s[0:1]
	s_cbranch_execz .LBB0_4
; %bb.3:                                ;   in Loop: Header=BB0_2 Depth=1
	v_cvt_f32_u32_e32 v2, s20
	v_cvt_f32_u32_e32 v6, s21
	s_sub_u32 s0, 0, s20
	s_subb_u32 s1, 0, s21
	v_mac_f32_e32 v2, 0x4f800000, v6
	v_rcp_f32_e32 v2, v2
	v_mul_f32_e32 v2, 0x5f7ffffc, v2
	v_mul_f32_e32 v6, 0x2f800000, v2
	v_trunc_f32_e32 v6, v6
	v_mac_f32_e32 v2, 0xcf800000, v6
	v_cvt_u32_f32_e32 v6, v6
	v_cvt_u32_f32_e32 v2, v2
	v_mul_lo_u32 v9, s0, v6
	v_mul_hi_u32 v10, s0, v2
	v_mul_lo_u32 v12, s1, v2
	v_mul_lo_u32 v11, s0, v2
	v_add_u32_e32 v9, v10, v9
	v_add_u32_e32 v9, v9, v12
	v_mul_hi_u32 v10, v2, v11
	v_mul_lo_u32 v12, v2, v9
	v_mul_hi_u32 v14, v2, v9
	v_mul_hi_u32 v13, v6, v11
	v_mul_lo_u32 v11, v6, v11
	v_mul_hi_u32 v15, v6, v9
	v_add_co_u32_e32 v10, vcc, v10, v12
	v_addc_co_u32_e32 v12, vcc, 0, v14, vcc
	v_mul_lo_u32 v9, v6, v9
	v_add_co_u32_e32 v10, vcc, v10, v11
	v_addc_co_u32_e32 v10, vcc, v12, v13, vcc
	v_addc_co_u32_e32 v11, vcc, 0, v15, vcc
	v_add_co_u32_e32 v9, vcc, v10, v9
	v_addc_co_u32_e32 v10, vcc, 0, v11, vcc
	v_add_co_u32_e32 v2, vcc, v2, v9
	v_addc_co_u32_e32 v6, vcc, v6, v10, vcc
	v_mul_lo_u32 v9, s0, v6
	v_mul_hi_u32 v10, s0, v2
	v_mul_lo_u32 v11, s1, v2
	v_mul_lo_u32 v12, s0, v2
	v_add_u32_e32 v9, v10, v9
	v_add_u32_e32 v9, v9, v11
	v_mul_lo_u32 v13, v2, v9
	v_mul_hi_u32 v14, v2, v12
	v_mul_hi_u32 v15, v2, v9
	;; [unrolled: 1-line block ×3, first 2 shown]
	v_mul_lo_u32 v12, v6, v12
	v_mul_hi_u32 v10, v6, v9
	v_add_co_u32_e32 v13, vcc, v14, v13
	v_addc_co_u32_e32 v14, vcc, 0, v15, vcc
	v_mul_lo_u32 v9, v6, v9
	v_add_co_u32_e32 v12, vcc, v13, v12
	v_addc_co_u32_e32 v11, vcc, v14, v11, vcc
	v_addc_co_u32_e32 v10, vcc, 0, v10, vcc
	v_add_co_u32_e32 v9, vcc, v11, v9
	v_addc_co_u32_e32 v10, vcc, 0, v10, vcc
	v_add_co_u32_e32 v2, vcc, v2, v9
	v_addc_co_u32_e32 v6, vcc, v6, v10, vcc
	v_mad_u64_u32 v[9:10], s[0:1], v7, v6, 0
	v_mul_hi_u32 v11, v7, v2
	v_add_co_u32_e32 v13, vcc, v11, v9
	v_addc_co_u32_e32 v14, vcc, 0, v10, vcc
	v_mad_u64_u32 v[9:10], s[0:1], v8, v2, 0
	v_mad_u64_u32 v[11:12], s[0:1], v8, v6, 0
	v_add_co_u32_e32 v2, vcc, v13, v9
	v_addc_co_u32_e32 v2, vcc, v14, v10, vcc
	v_addc_co_u32_e32 v6, vcc, 0, v12, vcc
	v_add_co_u32_e32 v2, vcc, v2, v11
	v_addc_co_u32_e32 v6, vcc, 0, v6, vcc
	v_mul_lo_u32 v11, s21, v2
	v_mul_lo_u32 v12, s20, v6
	v_mad_u64_u32 v[9:10], s[0:1], s20, v2, 0
	v_add3_u32 v10, v10, v12, v11
	v_sub_u32_e32 v11, v8, v10
	v_mov_b32_e32 v12, s21
	v_sub_co_u32_e32 v9, vcc, v7, v9
	v_subb_co_u32_e64 v11, s[0:1], v11, v12, vcc
	v_subrev_co_u32_e64 v12, s[0:1], s20, v9
	v_subbrev_co_u32_e64 v11, s[0:1], 0, v11, s[0:1]
	v_cmp_le_u32_e64 s[0:1], s21, v11
	v_cndmask_b32_e64 v13, 0, -1, s[0:1]
	v_cmp_le_u32_e64 s[0:1], s20, v12
	v_cndmask_b32_e64 v12, 0, -1, s[0:1]
	v_cmp_eq_u32_e64 s[0:1], s21, v11
	v_cndmask_b32_e64 v11, v13, v12, s[0:1]
	v_add_co_u32_e64 v12, s[0:1], 2, v2
	v_addc_co_u32_e64 v13, s[0:1], 0, v6, s[0:1]
	v_add_co_u32_e64 v14, s[0:1], 1, v2
	v_addc_co_u32_e64 v15, s[0:1], 0, v6, s[0:1]
	v_subb_co_u32_e32 v10, vcc, v8, v10, vcc
	v_cmp_ne_u32_e64 s[0:1], 0, v11
	v_cmp_le_u32_e32 vcc, s21, v10
	v_cndmask_b32_e64 v11, v15, v13, s[0:1]
	v_cndmask_b32_e64 v13, 0, -1, vcc
	v_cmp_le_u32_e32 vcc, s20, v9
	v_cndmask_b32_e64 v9, 0, -1, vcc
	v_cmp_eq_u32_e32 vcc, s21, v10
	v_cndmask_b32_e32 v9, v13, v9, vcc
	v_cmp_ne_u32_e32 vcc, 0, v9
	v_cndmask_b32_e32 v10, v6, v11, vcc
	v_cndmask_b32_e64 v6, v14, v12, s[0:1]
	v_cndmask_b32_e32 v9, v2, v6, vcc
.LBB0_4:                                ;   in Loop: Header=BB0_2 Depth=1
	s_andn2_saveexec_b64 s[0:1], s[22:23]
	s_cbranch_execz .LBB0_6
; %bb.5:                                ;   in Loop: Header=BB0_2 Depth=1
	v_cvt_f32_u32_e32 v2, s20
	s_sub_i32 s22, 0, s20
	v_rcp_iflag_f32_e32 v2, v2
	v_mul_f32_e32 v2, 0x4f7ffffe, v2
	v_cvt_u32_f32_e32 v2, v2
	v_mul_lo_u32 v6, s22, v2
	v_mul_hi_u32 v6, v2, v6
	v_add_u32_e32 v2, v2, v6
	v_mul_hi_u32 v2, v7, v2
	v_mul_lo_u32 v6, v2, s20
	v_add_u32_e32 v9, 1, v2
	v_sub_u32_e32 v6, v7, v6
	v_subrev_u32_e32 v10, s20, v6
	v_cmp_le_u32_e32 vcc, s20, v6
	v_cndmask_b32_e32 v6, v6, v10, vcc
	v_cndmask_b32_e32 v2, v2, v9, vcc
	v_add_u32_e32 v9, 1, v2
	v_cmp_le_u32_e32 vcc, s20, v6
	v_cndmask_b32_e32 v9, v2, v9, vcc
	v_mov_b32_e32 v10, v5
.LBB0_6:                                ;   in Loop: Header=BB0_2 Depth=1
	s_or_b64 exec, exec, s[0:1]
	v_mul_lo_u32 v2, v10, s20
	v_mul_lo_u32 v6, v9, s21
	v_mad_u64_u32 v[11:12], s[0:1], v9, s20, 0
	s_load_dwordx2 s[0:1], s[6:7], 0x0
	s_add_u32 s16, s16, 1
	v_add3_u32 v2, v12, v6, v2
	v_sub_co_u32_e32 v6, vcc, v7, v11
	v_subb_co_u32_e32 v2, vcc, v8, v2, vcc
	s_waitcnt lgkmcnt(0)
	v_mul_lo_u32 v2, s0, v2
	v_mul_lo_u32 v7, s1, v6
	v_mad_u64_u32 v[3:4], s[0:1], s0, v6, v[3:4]
	s_addc_u32 s17, s17, 0
	s_add_u32 s6, s6, 8
	v_add3_u32 v4, v7, v4, v2
	v_mov_b32_e32 v6, s10
	v_mov_b32_e32 v7, s11
	s_addc_u32 s7, s7, 0
	v_cmp_ge_u64_e32 vcc, s[16:17], v[6:7]
	s_add_u32 s18, s18, 8
	s_addc_u32 s19, s19, 0
	s_cbranch_vccnz .LBB0_8
; %bb.7:                                ;   in Loop: Header=BB0_2 Depth=1
	v_mov_b32_e32 v7, v9
	v_mov_b32_e32 v8, v10
	s_branch .LBB0_2
.LBB0_8:
	s_lshl_b64 s[0:1], s[10:11], 3
	s_add_u32 s0, s14, s0
	s_addc_u32 s1, s15, s1
	s_load_dwordx2 s[6:7], s[0:1], 0x0
	s_load_dwordx2 s[10:11], s[4:5], 0x20
                                        ; implicit-def: $vgpr113
                                        ; implicit-def: $vgpr117
                                        ; implicit-def: $vgpr118
                                        ; implicit-def: $vgpr119
	s_waitcnt lgkmcnt(0)
	v_mad_u64_u32 v[2:3], s[0:1], s6, v9, v[3:4]
	s_mov_b32 s0, 0x3531ded
	v_mul_hi_u32 v4, v0, s0
	v_mul_lo_u32 v5, s6, v10
	v_mul_lo_u32 v6, s7, v9
	v_cmp_gt_u64_e32 vcc, s[10:11], v[9:10]
	v_cmp_le_u64_e64 s[0:1], s[10:11], v[9:10]
	v_mul_u32_u24_e32 v4, 0x4d, v4
	v_add3_u32 v3, v6, v3, v5
	v_sub_u32_e32 v112, v0, v4
	s_and_saveexec_b64 s[4:5], s[0:1]
	s_xor_b64 s[0:1], exec, s[4:5]
; %bb.9:
	v_add_u32_e32 v113, 0x4d, v112
	v_add_u32_e32 v117, 0x9a, v112
	;; [unrolled: 1-line block ×4, first 2 shown]
; %bb.10:
	s_or_saveexec_b64 s[4:5], s[0:1]
	v_lshlrev_b64 v[100:101], 4, v[2:3]
                                        ; implicit-def: $vgpr74_vgpr75
                                        ; implicit-def: $vgpr46_vgpr47
                                        ; implicit-def: $vgpr78_vgpr79
                                        ; implicit-def: $vgpr50_vgpr51
                                        ; implicit-def: $vgpr82_vgpr83
                                        ; implicit-def: $vgpr54_vgpr55
                                        ; implicit-def: $vgpr86_vgpr87
                                        ; implicit-def: $vgpr58_vgpr59
                                        ; implicit-def: $vgpr90_vgpr91
                                        ; implicit-def: $vgpr62_vgpr63
                                        ; implicit-def: $vgpr94_vgpr95
                                        ; implicit-def: $vgpr66_vgpr67
                                        ; implicit-def: $vgpr98_vgpr99
                                        ; implicit-def: $vgpr70_vgpr71
	s_xor_b64 exec, exec, s[4:5]
	s_cbranch_execz .LBB0_12
; %bb.11:
	v_mad_u64_u32 v[2:3], s[0:1], s2, v112, 0
	v_add_u32_e32 v7, 0x21b, v112
	v_mov_b32_e32 v6, s13
	v_mov_b32_e32 v0, v3
	v_mad_u64_u32 v[3:4], s[0:1], s3, v112, v[0:1]
	v_mad_u64_u32 v[4:5], s[0:1], s2, v7, 0
	v_add_co_u32_e64 v31, s[0:1], s12, v100
	v_mov_b32_e32 v0, v5
	v_addc_co_u32_e64 v32, s[0:1], v6, v101, s[0:1]
	v_mad_u64_u32 v[5:6], s[0:1], s3, v7, v[0:1]
	v_add_u32_e32 v113, 0x4d, v112
	v_mad_u64_u32 v[6:7], s[0:1], s2, v113, 0
	v_lshlrev_b64 v[2:3], 4, v[2:3]
	v_add_u32_e32 v10, 0x268, v112
	v_add_co_u32_e64 v2, s[0:1], v31, v2
	v_mov_b32_e32 v0, v7
	v_addc_co_u32_e64 v3, s[0:1], v32, v3, s[0:1]
	v_mad_u64_u32 v[7:8], s[0:1], s3, v113, v[0:1]
	v_mad_u64_u32 v[8:9], s[0:1], s2, v10, 0
	v_lshlrev_b64 v[4:5], 4, v[4:5]
	v_add_u32_e32 v117, 0x9a, v112
	v_add_co_u32_e64 v4, s[0:1], v31, v4
	v_mov_b32_e32 v0, v9
	v_addc_co_u32_e64 v5, s[0:1], v32, v5, s[0:1]
	v_mad_u64_u32 v[9:10], s[0:1], s3, v10, v[0:1]
	v_mad_u64_u32 v[10:11], s[0:1], s2, v117, 0
	v_lshlrev_b64 v[6:7], 4, v[6:7]
	v_add_u32_e32 v14, 0x2b5, v112
	v_add_co_u32_e64 v6, s[0:1], v31, v6
	v_mov_b32_e32 v0, v11
	v_addc_co_u32_e64 v7, s[0:1], v32, v7, s[0:1]
	v_mad_u64_u32 v[11:12], s[0:1], s3, v117, v[0:1]
	v_mad_u64_u32 v[12:13], s[0:1], s2, v14, 0
	v_lshlrev_b64 v[8:9], 4, v[8:9]
	v_add_u32_e32 v16, 0xe7, v112
	v_add_co_u32_e64 v8, s[0:1], v31, v8
	v_mov_b32_e32 v0, v13
	v_addc_co_u32_e64 v9, s[0:1], v32, v9, s[0:1]
	v_mad_u64_u32 v[13:14], s[0:1], s3, v14, v[0:1]
	v_mad_u64_u32 v[14:15], s[0:1], s2, v16, 0
	v_lshlrev_b64 v[10:11], 4, v[10:11]
	v_add_u32_e32 v18, 0x302, v112
	v_add_co_u32_e64 v10, s[0:1], v31, v10
	v_mov_b32_e32 v0, v15
	v_addc_co_u32_e64 v11, s[0:1], v32, v11, s[0:1]
	v_mad_u64_u32 v[15:16], s[0:1], s3, v16, v[0:1]
	v_mad_u64_u32 v[16:17], s[0:1], s2, v18, 0
	v_lshlrev_b64 v[12:13], 4, v[12:13]
	v_add_u32_e32 v118, 0x134, v112
	v_add_co_u32_e64 v12, s[0:1], v31, v12
	v_mov_b32_e32 v0, v17
	v_addc_co_u32_e64 v13, s[0:1], v32, v13, s[0:1]
	v_mad_u64_u32 v[17:18], s[0:1], s3, v18, v[0:1]
	v_mad_u64_u32 v[18:19], s[0:1], s2, v118, 0
	v_lshlrev_b64 v[14:15], 4, v[14:15]
	v_add_u32_e32 v22, 0x34f, v112
	v_add_co_u32_e64 v14, s[0:1], v31, v14
	v_mov_b32_e32 v0, v19
	v_addc_co_u32_e64 v15, s[0:1], v32, v15, s[0:1]
	v_mad_u64_u32 v[19:20], s[0:1], s3, v118, v[0:1]
	v_mad_u64_u32 v[20:21], s[0:1], s2, v22, 0
	v_lshlrev_b64 v[16:17], 4, v[16:17]
	v_add_u32_e32 v24, 0x181, v112
	v_add_co_u32_e64 v16, s[0:1], v31, v16
	v_mov_b32_e32 v0, v21
	v_addc_co_u32_e64 v17, s[0:1], v32, v17, s[0:1]
	v_mad_u64_u32 v[21:22], s[0:1], s3, v22, v[0:1]
	v_mad_u64_u32 v[22:23], s[0:1], s2, v24, 0
	v_lshlrev_b64 v[18:19], 4, v[18:19]
	v_add_u32_e32 v26, 0x39c, v112
	v_add_co_u32_e64 v18, s[0:1], v31, v18
	v_mov_b32_e32 v0, v23
	v_addc_co_u32_e64 v19, s[0:1], v32, v19, s[0:1]
	v_mad_u64_u32 v[23:24], s[0:1], s3, v24, v[0:1]
	v_mad_u64_u32 v[24:25], s[0:1], s2, v26, 0
	v_lshlrev_b64 v[20:21], 4, v[20:21]
	v_add_u32_e32 v119, 0x1ce, v112
	v_add_co_u32_e64 v20, s[0:1], v31, v20
	v_mov_b32_e32 v0, v25
	v_addc_co_u32_e64 v21, s[0:1], v32, v21, s[0:1]
	v_mad_u64_u32 v[25:26], s[0:1], s3, v26, v[0:1]
	v_mad_u64_u32 v[26:27], s[0:1], s2, v119, 0
	v_lshlrev_b64 v[22:23], 4, v[22:23]
	v_add_u32_e32 v30, 0x3e9, v112
	v_add_co_u32_e64 v22, s[0:1], v31, v22
	v_mov_b32_e32 v0, v27
	v_addc_co_u32_e64 v23, s[0:1], v32, v23, s[0:1]
	v_mad_u64_u32 v[27:28], s[0:1], s3, v119, v[0:1]
	v_mad_u64_u32 v[28:29], s[0:1], s2, v30, 0
	v_lshlrev_b64 v[24:25], 4, v[24:25]
	v_lshlrev_b64 v[26:27], 4, v[26:27]
	v_add_co_u32_e64 v24, s[0:1], v31, v24
	v_mov_b32_e32 v0, v29
	v_addc_co_u32_e64 v25, s[0:1], v32, v25, s[0:1]
	v_mad_u64_u32 v[29:30], s[0:1], s3, v30, v[0:1]
	v_add_co_u32_e64 v26, s[0:1], v31, v26
	v_lshlrev_b64 v[28:29], 4, v[28:29]
	v_addc_co_u32_e64 v27, s[0:1], v32, v27, s[0:1]
	v_add_co_u32_e64 v28, s[0:1], v31, v28
	v_addc_co_u32_e64 v29, s[0:1], v32, v29, s[0:1]
	global_load_dwordx4 v[68:71], v[2:3], off
	global_load_dwordx4 v[96:99], v[4:5], off
	;; [unrolled: 1-line block ×14, first 2 shown]
.LBB0_12:
	s_or_b64 exec, exec, s[4:5]
	s_mov_b32 s0, 0xaaaaaaab
	s_waitcnt vmcnt(12)
	v_add_f64 v[2:3], v[68:69], -v[96:97]
	v_mul_hi_u32 v0, v1, s0
	s_waitcnt vmcnt(10)
	v_add_f64 v[12:13], v[64:65], -v[92:93]
	s_waitcnt vmcnt(8)
	v_add_f64 v[16:17], v[60:61], -v[88:89]
	;; [unrolled: 2-line block ×3, first 2 shown]
	v_lshrrev_b32_e32 v0, 1, v0
	v_lshl_add_u32 v0, v0, 1, v0
	v_sub_u32_e32 v4, v1, v0
	s_waitcnt vmcnt(4)
	v_add_f64 v[24:25], v[52:53], -v[80:81]
	s_waitcnt vmcnt(0)
	v_add_f64 v[8:9], v[44:45], -v[72:73]
	v_fma_f64 v[0:1], v[68:69], 2.0, -v[2:3]
	v_mul_u32_u24_e32 v6, 0x436, v4
	v_add_f64 v[4:5], v[48:49], -v[76:77]
	v_lshlrev_b32_e32 v116, 3, v6
	v_add_u32_e32 v26, 0, v116
	v_fma_f64 v[10:11], v[64:65], 2.0, -v[12:13]
	v_fma_f64 v[14:15], v[60:61], 2.0, -v[16:17]
	;; [unrolled: 1-line block ×3, first 2 shown]
	v_lshl_add_u32 v56, v112, 4, v26
	v_fma_f64 v[22:23], v[52:53], 2.0, -v[24:25]
	v_fma_f64 v[6:7], v[44:45], 2.0, -v[8:9]
	ds_write_b128 v56, v[0:3]
	v_fma_f64 v[2:3], v[48:49], 2.0, -v[4:5]
	v_lshlrev_b32_e32 v0, 3, v112
	v_lshl_add_u32 v57, v113, 4, v26
	v_lshl_add_u32 v60, v117, 4, v26
	;; [unrolled: 1-line block ×4, first 2 shown]
	v_add_u32_e32 v114, v26, v0
	v_add3_u32 v115, 0, v0, v116
	ds_write_b128 v57, v[10:13]
	ds_write_b128 v60, v[14:17]
	ds_write_b128 v56, v[18:21] offset:3696
	ds_write_b128 v52, v[22:25]
	ds_write_b128 v56, v[2:5] offset:6160
	ds_write_b128 v53, v[6:9]
	s_waitcnt lgkmcnt(0)
	s_barrier
	v_add_u32_e32 v61, 0x800, v115
	v_add_u32_e32 v64, 0xc00, v115
	;; [unrolled: 1-line block ×4, first 2 shown]
	ds_read_b64 v[88:89], v114
	ds_read2_b64 v[42:45], v115 offset0:98 offset1:196
	ds_read2_b64 v[38:41], v61 offset0:38 offset1:136
	;; [unrolled: 1-line block ×5, first 2 shown]
	v_cmp_gt_u32_e64 s[0:1], 21, v112
	v_lshlrev_b32_e32 v120, 3, v113
                                        ; implicit-def: $vgpr12_vgpr13
                                        ; implicit-def: $vgpr20_vgpr21
                                        ; implicit-def: $vgpr28_vgpr29
                                        ; implicit-def: $vgpr36_vgpr37
	s_and_saveexec_b64 s[4:5], s[0:1]
	s_cbranch_execz .LBB0_14
; %bb.13:
	v_add3_u32 v0, 0, v120, v116
	ds_read_b64 v[4:5], v0
	v_add_u32_e32 v0, 0x400, v115
	ds_read2_b64 v[6:9], v0 offset0:47 offset1:145
	ds_read2_b64 v[34:37], v61 offset0:115 offset1:213
	v_add_u32_e32 v0, 0x1000, v115
	ds_read2_b64 v[26:29], v0 offset0:55 offset1:153
	ds_read2_b64 v[18:21], v65 offset0:123 offset1:221
	v_add_u32_e32 v0, 0x1c00, v115
	ds_read2_b64 v[10:13], v0 offset0:63 offset1:161
.LBB0_14:
	s_or_b64 exec, exec, s[4:5]
	v_add_f64 v[72:73], v[70:71], -v[98:99]
	v_add_f64 v[68:69], v[66:67], -v[94:95]
	;; [unrolled: 1-line block ×7, first 2 shown]
	s_waitcnt lgkmcnt(0)
	v_fma_f64 v[70:71], v[70:71], 2.0, -v[72:73]
	v_fma_f64 v[66:67], v[66:67], 2.0, -v[68:69]
	;; [unrolled: 1-line block ×7, first 2 shown]
	s_barrier
	ds_write_b128 v56, v[70:73]
	ds_write_b128 v57, v[66:69]
	;; [unrolled: 1-line block ×3, first 2 shown]
	ds_write_b128 v56, v[82:85] offset:3696
	ds_write_b128 v52, v[90:93]
	ds_write_b128 v56, v[0:3] offset:6160
	ds_write_b128 v53, v[46:49]
	s_waitcnt lgkmcnt(0)
	s_barrier
	ds_read_b64 v[0:1], v114
	ds_read2_b64 v[82:85], v115 offset0:98 offset1:196
	ds_read2_b64 v[78:81], v61 offset0:38 offset1:136
	;; [unrolled: 1-line block ×5, first 2 shown]
                                        ; implicit-def: $vgpr52_vgpr53
                                        ; implicit-def: $vgpr56_vgpr57
                                        ; implicit-def: $vgpr64_vgpr65
                                        ; implicit-def: $vgpr76_vgpr77
	s_and_saveexec_b64 s[4:5], s[0:1]
	s_cbranch_execz .LBB0_16
; %bb.15:
	v_add_u32_e32 v50, 0x800, v115
	ds_read2_b64 v[74:77], v50 offset0:115 offset1:213
	v_add_u32_e32 v50, 0x1000, v115
	ds_read2_b64 v[62:65], v50 offset0:55 offset1:153
	v_add_u32_e32 v50, 0x1400, v115
	v_add3_u32 v2, 0, v120, v116
	v_add_u32_e32 v46, 0x400, v115
	ds_read2_b64 v[54:57], v50 offset0:123 offset1:221
	v_add_u32_e32 v50, 0x1c00, v115
	ds_read_b64 v[2:3], v2
	ds_read2_b64 v[46:49], v46 offset0:47 offset1:145
	ds_read2_b64 v[50:53], v50 offset0:63 offset1:161
.LBB0_16:
	s_or_b64 exec, exec, s[4:5]
	v_and_b32_e32 v122, 1, v112
	v_mul_u32_u24_e32 v86, 10, v122
	v_lshlrev_b32_e32 v86, 4, v86
	global_load_dwordx4 v[90:93], v86, s[8:9]
	global_load_dwordx4 v[94:97], v86, s[8:9] offset:16
	global_load_dwordx4 v[102:105], v86, s[8:9] offset:32
	;; [unrolled: 1-line block ×9, first 2 shown]
	v_and_b32_e32 v121, 1, v113
	v_mul_u32_u24_e32 v87, 10, v121
	v_lshlrev_b32_e32 v86, 4, v87
	global_load_dwordx4 v[147:150], v86, s[8:9]
	global_load_dwordx4 v[151:154], v86, s[8:9] offset:16
	global_load_dwordx4 v[155:158], v86, s[8:9] offset:32
	;; [unrolled: 1-line block ×9, first 2 shown]
	s_mov_b32 s4, 0xf8bb580b
	s_mov_b32 s5, 0xbfe14ced
	;; [unrolled: 1-line block ×28, first 2 shown]
	s_waitcnt vmcnt(0) lgkmcnt(0)
	s_barrier
	v_mul_f64 v[86:87], v[82:83], v[92:93]
	v_mul_f64 v[92:93], v[42:43], v[92:93]
	;; [unrolled: 1-line block ×11, first 2 shown]
	v_fma_f64 v[110:111], v[82:83], v[90:91], -v[92:93]
	v_mul_f64 v[199:200], v[66:67], v[133:134]
	v_mul_f64 v[133:134], v[22:23], v[133:134]
	;; [unrolled: 1-line block ×4, first 2 shown]
	v_fma_f64 v[92:93], v[68:69], v[135:136], -v[137:138]
	v_mul_f64 v[149:150], v[6:7], v[149:150]
	v_fma_f64 v[68:69], v[60:61], v[143:144], -v[145:146]
	v_mul_f64 v[209:210], v[48:49], v[153:154]
	v_fma_f64 v[108:109], v[42:43], v[90:91], v[86:87]
	v_fma_f64 v[16:17], v[16:17], v[143:144], v[205:206]
	;; [unrolled: 1-line block ×3, first 2 shown]
	v_mul_f64 v[187:188], v[78:79], v[104:105]
	v_mul_f64 v[189:190], v[38:39], v[104:105]
	;; [unrolled: 1-line block ×3, first 2 shown]
	v_add_f64 v[6:7], v[110:111], -v[68:69]
	v_mul_f64 v[211:212], v[74:75], v[157:158]
	v_mul_f64 v[217:218], v[64:65], v[169:170]
	v_mul_f64 v[169:170], v[28:29], v[169:170]
	v_mul_f64 v[219:220], v[54:55], v[173:174]
	v_mul_f64 v[221:222], v[56:57], v[177:178]
	v_mul_f64 v[177:178], v[20:21], v[177:178]
	v_fma_f64 v[96:97], v[84:85], v[94:95], -v[96:97]
	v_fma_f64 v[82:83], v[40:41], v[106:107], v[191:192]
	v_fma_f64 v[86:87], v[80:81], v[106:107], -v[193:194]
	v_fma_f64 v[90:91], v[66:67], v[131:132], -v[133:134]
	v_fma_f64 v[106:107], v[14:15], v[139:140], v[203:204]
	v_fma_f64 v[14:15], v[58:59], v[139:140], -v[141:142]
	v_fma_f64 v[66:67], v[46:47], v[147:148], -v[149:150]
	v_fma_f64 v[58:59], v[8:9], v[151:152], v[209:210]
	v_add_f64 v[8:9], v[108:109], v[16:17]
	v_mul_f64 v[46:47], v[6:7], s[4:5]
	v_mul_f64 v[195:196], v[70:71], v[125:126]
	;; [unrolled: 1-line block ×15, first 2 shown]
	v_fma_f64 v[104:105], v[44:45], v[94:95], v[98:99]
	v_fma_f64 v[98:99], v[38:39], v[102:103], v[187:188]
	v_fma_f64 v[94:95], v[78:79], v[102:103], -v[189:190]
	v_fma_f64 v[102:103], v[24:25], v[135:136], v[201:202]
	v_fma_f64 v[38:39], v[34:35], v[155:156], v[211:212]
	;; [unrolled: 1-line block ×3, first 2 shown]
	v_fma_f64 v[28:29], v[64:65], v[167:168], -v[169:170]
	v_fma_f64 v[34:35], v[18:19], v[171:172], v[219:220]
	v_mul_f64 v[18:19], v[6:7], s[6:7]
	v_fma_f64 v[42:43], v[56:57], v[175:176], -v[177:178]
	v_fma_f64 v[56:57], v[8:9], s[10:11], v[46:47]
	v_add_f64 v[64:65], v[96:97], -v[14:15]
	v_fma_f64 v[78:79], v[30:31], v[123:124], v[195:196]
	v_fma_f64 v[80:81], v[70:71], v[123:124], -v[125:126]
	v_fma_f64 v[70:71], v[32:33], v[127:128], v[197:198]
	v_fma_f64 v[72:73], v[72:73], v[127:128], -v[129:130]
	v_fma_f64 v[84:85], v[22:23], v[131:132], v[199:200]
	v_fma_f64 v[30:31], v[36:37], v[159:160], v[213:214]
	v_fma_f64 v[32:33], v[76:77], v[159:160], -v[161:162]
	v_fma_f64 v[22:23], v[26:27], v[163:164], v[215:216]
	v_fma_f64 v[26:27], v[62:63], v[163:164], -v[165:166]
	v_fma_f64 v[36:37], v[54:55], v[171:172], -v[173:174]
	v_fma_f64 v[54:55], v[10:11], v[179:180], v[223:224]
	v_fma_f64 v[44:45], v[50:51], v[179:180], -v[181:182]
	v_fma_f64 v[50:51], v[12:13], v[183:184], v[225:226]
	v_fma_f64 v[10:11], v[8:9], s[10:11], -v[46:47]
	v_fma_f64 v[46:47], v[52:53], v[183:184], -v[185:186]
	v_fma_f64 v[12:13], v[8:9], s[14:15], v[18:19]
	v_fma_f64 v[18:19], v[8:9], s[14:15], -v[18:19]
	v_add_f64 v[52:53], v[88:89], v[56:57]
	v_mul_f64 v[56:57], v[6:7], s[16:17]
	v_mul_f64 v[62:63], v[6:7], s[18:19]
	;; [unrolled: 1-line block ×3, first 2 shown]
	v_add_f64 v[76:77], v[104:105], v[106:107]
	v_mul_f64 v[123:124], v[64:65], s[6:7]
	v_mul_f64 v[127:128], v[64:65], s[18:19]
	v_fma_f64 v[40:41], v[74:75], v[155:156], -v[157:158]
	v_add_f64 v[10:11], v[88:89], v[10:11]
	v_fma_f64 v[74:75], v[8:9], s[20:21], v[56:57]
	v_fma_f64 v[56:57], v[8:9], s[20:21], -v[56:57]
	v_fma_f64 v[125:126], v[8:9], s[22:23], v[62:63]
	v_fma_f64 v[62:63], v[8:9], s[22:23], -v[62:63]
	v_fma_f64 v[129:130], v[8:9], s[30:31], v[6:7]
	v_fma_f64 v[131:132], v[76:77], s[14:15], v[123:124]
	v_fma_f64 v[123:124], v[76:77], s[14:15], -v[123:124]
	v_mul_f64 v[135:136], v[64:65], s[28:29]
	v_fma_f64 v[6:7], v[8:9], s[30:31], -v[6:7]
	v_add_f64 v[8:9], v[88:89], v[18:19]
	v_fma_f64 v[18:19], v[76:77], s[22:23], -v[127:128]
	v_add_f64 v[12:13], v[88:89], v[12:13]
	v_fma_f64 v[133:134], v[76:77], s[22:23], v[127:128]
	v_add_f64 v[52:53], v[131:132], v[52:53]
	v_add_f64 v[10:11], v[123:124], v[10:11]
	;; [unrolled: 1-line block ×3, first 2 shown]
	v_fma_f64 v[123:124], v[76:77], s[30:31], v[135:136]
	v_add_f64 v[56:57], v[88:89], v[56:57]
	v_add_f64 v[8:9], v[18:19], v[8:9]
	v_mul_f64 v[18:19], v[64:65], s[26:27]
	v_fma_f64 v[127:128], v[76:77], s[30:31], -v[135:136]
	v_add_f64 v[131:132], v[94:95], -v[92:93]
	v_mul_f64 v[64:65], v[64:65], s[34:35]
	v_add_f64 v[12:13], v[133:134], v[12:13]
	v_add_f64 v[62:63], v[88:89], v[62:63]
	;; [unrolled: 1-line block ×4, first 2 shown]
	v_fma_f64 v[133:134], v[76:77], s[20:21], v[18:19]
	v_fma_f64 v[18:19], v[76:77], s[20:21], -v[18:19]
	v_add_f64 v[56:57], v[127:128], v[56:57]
	v_add_f64 v[127:128], v[88:89], v[129:130]
	v_fma_f64 v[129:130], v[76:77], s[10:11], v[64:65]
	v_fma_f64 v[64:65], v[76:77], s[10:11], -v[64:65]
	v_mul_f64 v[76:77], v[131:132], s[28:29]
	v_add_f64 v[125:126], v[88:89], v[125:126]
	v_add_f64 v[6:7], v[88:89], v[6:7]
	;; [unrolled: 1-line block ×3, first 2 shown]
	v_mul_f64 v[135:136], v[131:132], s[16:17]
	v_mul_f64 v[137:138], v[131:132], s[36:37]
	v_add_f64 v[18:19], v[18:19], v[62:63]
	v_add_f64 v[62:63], v[129:130], v[127:128]
	v_fma_f64 v[127:128], v[123:124], s[30:31], v[76:77]
	v_fma_f64 v[76:77], v[123:124], s[30:31], -v[76:77]
	v_add_f64 v[125:126], v[133:134], v[125:126]
	v_add_f64 v[88:89], v[88:89], v[104:105]
	v_fma_f64 v[133:134], v[123:124], s[20:21], v[135:136]
	v_fma_f64 v[135:136], v[123:124], s[20:21], -v[135:136]
	v_add_f64 v[6:7], v[64:65], v[6:7]
	v_fma_f64 v[64:65], v[123:124], s[14:15], v[137:138]
	v_mul_f64 v[129:130], v[131:132], s[4:5]
	v_add_f64 v[12:13], v[127:128], v[12:13]
	v_add_f64 v[8:9], v[76:77], v[8:9]
	v_add_f64 v[76:77], v[86:87], -v[90:91]
	v_fma_f64 v[127:128], v[123:124], s[14:15], -v[137:138]
	v_mul_f64 v[131:132], v[131:132], s[18:19]
	v_add_f64 v[88:89], v[88:89], v[98:99]
	v_add_f64 v[52:53], v[133:134], v[52:53]
	v_add_f64 v[10:11], v[135:136], v[10:11]
	v_add_f64 v[64:65], v[64:65], v[74:75]
	v_fma_f64 v[74:75], v[123:124], s[10:11], v[129:130]
	v_add_f64 v[133:134], v[82:83], v[84:85]
	v_mul_f64 v[135:136], v[76:77], s[18:19]
	v_add_f64 v[56:57], v[127:128], v[56:57]
	v_fma_f64 v[127:128], v[123:124], s[22:23], v[131:132]
	v_mul_f64 v[137:138], v[76:77], s[26:27]
	v_fma_f64 v[129:130], v[123:124], s[10:11], -v[129:130]
	v_fma_f64 v[123:124], v[123:124], s[22:23], -v[131:132]
	v_add_f64 v[88:89], v[88:89], v[82:83]
	v_add_f64 v[74:75], v[74:75], v[125:126]
	v_fma_f64 v[125:126], v[133:134], s[22:23], v[135:136]
	v_fma_f64 v[48:49], v[48:49], v[151:152], -v[153:154]
	v_add_f64 v[62:63], v[127:128], v[62:63]
	v_fma_f64 v[127:128], v[133:134], s[20:21], v[137:138]
	v_add_f64 v[18:19], v[129:130], v[18:19]
	v_fma_f64 v[129:130], v[133:134], s[22:23], -v[135:136]
	v_add_f64 v[6:7], v[123:124], v[6:7]
	v_mul_f64 v[123:124], v[76:77], s[4:5]
	v_add_f64 v[88:89], v[88:89], v[78:79]
	v_fma_f64 v[131:132], v[133:134], s[20:21], -v[137:138]
	v_add_f64 v[52:53], v[125:126], v[52:53]
	v_mul_f64 v[125:126], v[76:77], s[24:25]
	v_add_f64 v[12:13], v[127:128], v[12:13]
	v_add_f64 v[127:128], v[80:81], -v[72:73]
	v_add_f64 v[10:11], v[129:130], v[10:11]
	v_fma_f64 v[129:130], v[133:134], s[10:11], v[123:124]
	v_mul_f64 v[76:77], v[76:77], s[36:37]
	v_add_f64 v[88:89], v[88:89], v[70:71]
	v_add_f64 v[8:9], v[131:132], v[8:9]
	v_fma_f64 v[123:124], v[133:134], s[10:11], -v[123:124]
	v_fma_f64 v[131:132], v[133:134], s[30:31], v[125:126]
	v_add_f64 v[135:136], v[78:79], v[70:71]
	v_mul_f64 v[137:138], v[127:128], s[24:25]
	v_fma_f64 v[125:126], v[133:134], s[30:31], -v[125:126]
	v_add_f64 v[64:65], v[129:130], v[64:65]
	v_fma_f64 v[129:130], v[133:134], s[14:15], v[76:77]
	v_add_f64 v[88:89], v[88:89], v[84:85]
	v_fma_f64 v[76:77], v[133:134], s[14:15], -v[76:77]
	v_add_f64 v[56:57], v[123:124], v[56:57]
	v_add_f64 v[74:75], v[131:132], v[74:75]
	v_fma_f64 v[123:124], v[135:136], s[30:31], v[137:138]
	v_add_f64 v[18:19], v[125:126], v[18:19]
	v_fma_f64 v[125:126], v[135:136], s[30:31], -v[137:138]
	v_add_f64 v[62:63], v[129:130], v[62:63]
	v_mul_f64 v[129:130], v[127:128], s[34:35]
	v_add_f64 v[88:89], v[88:89], v[102:103]
	v_add_f64 v[6:7], v[76:77], v[6:7]
	v_mul_f64 v[76:77], v[127:128], s[18:19]
	v_add_f64 v[52:53], v[123:124], v[52:53]
	v_mul_f64 v[123:124], v[127:128], s[36:37]
	;; [unrolled: 2-line block ×3, first 2 shown]
	v_fma_f64 v[127:128], v[135:136], s[10:11], v[129:130]
	v_add_f64 v[88:89], v[88:89], v[106:107]
	v_fma_f64 v[129:130], v[135:136], s[10:11], -v[129:130]
	v_fma_f64 v[131:132], v[135:136], s[22:23], v[76:77]
	v_fma_f64 v[76:77], v[135:136], s[22:23], -v[76:77]
	v_fma_f64 v[133:134], v[135:136], s[14:15], v[123:124]
	;; [unrolled: 2-line block ×3, first 2 shown]
	v_fma_f64 v[125:126], v[135:136], s[20:21], -v[125:126]
	v_add_f64 v[12:13], v[127:128], v[12:13]
	v_add_f64 v[127:128], v[88:89], v[16:17]
	v_fma_f64 v[20:21], v[20:21], v[175:176], v[221:222]
	v_add_f64 v[64:65], v[131:132], v[64:65]
	v_add_f64 v[74:75], v[133:134], v[74:75]
	;; [unrolled: 1-line block ×6, first 2 shown]
	v_lshrrev_b32_e32 v76, 1, v112
	v_add_f64 v[8:9], v[129:130], v[8:9]
	v_mul_u32_u24_e32 v76, 22, v76
	v_or_b32_e32 v76, v76, v122
	v_lshlrev_b32_e32 v76, 3, v76
	v_add3_u32 v88, 0, v76, v116
	ds_write2_b64 v88, v[127:128], v[52:53] offset1:2
	ds_write2_b64 v88, v[12:13], v[64:65] offset0:4 offset1:6
	ds_write2_b64 v88, v[74:75], v[62:63] offset0:8 offset1:10
	;; [unrolled: 1-line block ×4, first 2 shown]
	ds_write_b64 v88, v[10:11] offset:160
	v_lshrrev_b32_e32 v74, 1, v113
	s_and_saveexec_b64 s[38:39], s[0:1]
	s_cbranch_execz .LBB0_18
; %bb.17:
	v_add_f64 v[6:7], v[66:67], -v[46:47]
	v_add_f64 v[52:53], v[48:49], -v[44:45]
	v_add_f64 v[56:57], v[60:61], v[50:51]
	v_add_f64 v[18:19], v[40:41], -v[42:43]
	v_add_f64 v[122:123], v[58:59], v[54:55]
	;; [unrolled: 2-line block ×3, first 2 shown]
	v_add_f64 v[10:11], v[26:27], -v[28:29]
	v_mul_f64 v[62:63], v[6:7], s[24:25]
	v_mul_f64 v[128:129], v[52:53], s[34:35]
	;; [unrolled: 1-line block ×4, first 2 shown]
	v_add_f64 v[64:65], v[30:31], v[34:35]
	v_mul_f64 v[126:127], v[12:13], s[36:37]
	v_mul_f64 v[144:145], v[52:53], s[26:27]
	v_add_f64 v[8:9], v[22:23], v[24:25]
	v_fma_f64 v[132:133], v[56:57], s[30:31], -v[62:63]
	v_fma_f64 v[62:63], v[56:57], s[30:31], v[62:63]
	v_fma_f64 v[142:143], v[122:123], s[10:11], -v[128:129]
	v_fma_f64 v[128:129], v[122:123], s[10:11], v[128:129]
	v_fma_f64 v[150:151], v[56:57], s[22:23], -v[140:141]
	v_fma_f64 v[152:153], v[75:76], s[22:23], -v[130:131]
	v_mul_f64 v[124:125], v[10:11], s[16:17]
	v_mul_f64 v[138:139], v[18:19], s[4:5]
	v_add_f64 v[132:133], v[4:5], v[132:133]
	v_add_f64 v[62:63], v[4:5], v[62:63]
	v_mul_f64 v[148:149], v[6:7], s[16:17]
	v_fma_f64 v[130:131], v[75:76], s[22:23], v[130:131]
	v_fma_f64 v[154:155], v[122:123], s[20:21], -v[144:145]
	v_add_f64 v[150:151], v[4:5], v[150:151]
	v_mul_f64 v[136:137], v[12:13], s[24:25]
	v_mul_f64 v[146:147], v[52:53], s[28:29]
	v_add_f64 v[132:133], v[142:143], v[132:133]
	v_add_f64 v[62:63], v[128:129], v[62:63]
	v_fma_f64 v[142:143], v[64:65], s[14:15], -v[126:127]
	v_fma_f64 v[128:129], v[8:9], s[20:21], -v[124:125]
	v_fma_f64 v[126:127], v[64:65], s[14:15], v[126:127]
	v_fma_f64 v[140:141], v[56:57], s[22:23], v[140:141]
	v_add_f64 v[150:151], v[154:155], v[150:151]
	v_mul_f64 v[134:135], v[10:11], s[36:37]
	v_add_f64 v[132:133], v[152:153], v[132:133]
	v_add_f64 v[62:63], v[130:131], v[62:63]
	v_fma_f64 v[152:153], v[75:76], s[10:11], -v[138:139]
	v_fma_f64 v[124:125], v[8:9], s[20:21], v[124:125]
	v_fma_f64 v[144:145], v[122:123], s[20:21], v[144:145]
	v_add_f64 v[140:141], v[4:5], v[140:141]
	v_fma_f64 v[138:139], v[75:76], s[10:11], v[138:139]
	v_fma_f64 v[130:131], v[8:9], s[14:15], -v[134:135]
	v_add_f64 v[132:133], v[142:143], v[132:133]
	v_fma_f64 v[142:143], v[56:57], s[20:21], -v[148:149]
	v_add_f64 v[62:63], v[126:127], v[62:63]
	;; [unrolled: 2-line block ×3, first 2 shown]
	v_fma_f64 v[148:149], v[56:57], s[20:21], v[148:149]
	v_add_f64 v[140:141], v[144:145], v[140:141]
	v_fma_f64 v[144:145], v[122:123], s[30:31], v[146:147]
	v_add_f64 v[128:129], v[128:129], v[132:133]
	v_fma_f64 v[132:133], v[122:123], s[30:31], -v[146:147]
	v_add_f64 v[142:143], v[4:5], v[142:143]
	v_add_f64 v[62:63], v[124:125], v[62:63]
	v_mul_f64 v[124:125], v[18:19], s[36:37]
	v_add_f64 v[126:127], v[126:127], v[150:151]
	v_add_f64 v[146:147], v[4:5], v[148:149]
	v_add_f64 v[138:139], v[138:139], v[140:141]
	v_mul_f64 v[140:141], v[12:13], s[4:5]
	v_fma_f64 v[136:137], v[64:65], s[30:31], v[136:137]
	v_add_f64 v[132:133], v[132:133], v[142:143]
	v_add_f64 v[142:143], v[4:5], v[60:61]
	v_fma_f64 v[148:149], v[75:76], s[14:15], -v[124:125]
	v_fma_f64 v[124:125], v[75:76], s[14:15], v[124:125]
	v_add_f64 v[144:145], v[144:145], v[146:147]
	v_add_f64 v[126:127], v[130:131], v[126:127]
	v_fma_f64 v[146:147], v[64:65], s[10:11], -v[140:141]
	v_fma_f64 v[140:141], v[64:65], s[10:11], v[140:141]
	v_add_f64 v[136:137], v[136:137], v[138:139]
	v_add_f64 v[130:131], v[142:143], v[58:59]
	v_mul_f64 v[142:143], v[6:7], s[6:7]
	v_mul_f64 v[6:7], v[6:7], s[4:5]
	v_add_f64 v[124:125], v[124:125], v[144:145]
	v_mul_f64 v[144:145], v[52:53], s[18:19]
	v_mul_f64 v[52:53], v[52:53], s[6:7]
	v_add_f64 v[132:133], v[148:149], v[132:133]
	v_mul_f64 v[148:149], v[18:19], s[28:29]
	v_add_f64 v[130:131], v[130:131], v[38:39]
	v_mul_f64 v[18:19], v[18:19], s[16:17]
	v_fma_f64 v[158:159], v[56:57], s[10:11], v[6:7]
	v_add_f64 v[124:125], v[140:141], v[124:125]
	v_fma_f64 v[140:141], v[56:57], s[14:15], -v[142:143]
	v_fma_f64 v[152:153], v[122:123], s[22:23], -v[144:145]
	v_fma_f64 v[142:143], v[56:57], s[14:15], v[142:143]
	v_fma_f64 v[6:7], v[56:57], s[10:11], -v[6:7]
	v_add_f64 v[130:131], v[130:131], v[30:31]
	v_fma_f64 v[144:145], v[122:123], s[22:23], v[144:145]
	v_fma_f64 v[56:57], v[122:123], s[14:15], v[52:53]
	v_fma_f64 v[52:53], v[122:123], s[14:15], -v[52:53]
	v_add_f64 v[140:141], v[4:5], v[140:141]
	v_add_f64 v[132:133], v[146:147], v[132:133]
	;; [unrolled: 1-line block ×3, first 2 shown]
	v_mul_f64 v[146:147], v[12:13], s[26:27]
	v_add_f64 v[130:131], v[130:131], v[22:23]
	v_fma_f64 v[156:157], v[75:76], s[30:31], -v[148:149]
	v_fma_f64 v[148:149], v[75:76], s[30:31], v[148:149]
	v_mul_f64 v[138:139], v[10:11], s[18:19]
	v_add_f64 v[140:141], v[152:153], v[140:141]
	v_add_f64 v[152:153], v[4:5], v[158:159]
	;; [unrolled: 1-line block ×5, first 2 shown]
	v_mul_f64 v[6:7], v[12:13], s[18:19]
	v_fma_f64 v[12:13], v[75:76], s[20:21], v[18:19]
	v_fma_f64 v[18:19], v[75:76], s[20:21], -v[18:19]
	v_mul_f64 v[150:151], v[10:11], s[34:35]
	v_add_f64 v[56:57], v[56:57], v[152:153]
	v_add_f64 v[4:5], v[52:53], v[4:5]
	;; [unrolled: 1-line block ×4, first 2 shown]
	v_fma_f64 v[130:131], v[64:65], s[20:21], v[146:147]
	v_mul_f64 v[10:11], v[10:11], s[24:25]
	v_fma_f64 v[52:53], v[64:65], s[22:23], v[6:7]
	v_fma_f64 v[134:135], v[8:9], s[14:15], v[134:135]
	v_add_f64 v[12:13], v[12:13], v[56:57]
	v_fma_f64 v[154:155], v[64:65], s[20:21], -v[146:147]
	v_add_f64 v[75:76], v[156:157], v[140:141]
	v_add_f64 v[56:57], v[122:123], v[20:21]
	v_fma_f64 v[6:7], v[64:65], s[22:23], -v[6:7]
	v_add_f64 v[4:5], v[18:19], v[4:5]
	v_fma_f64 v[122:123], v[8:9], s[10:11], v[150:151]
	v_add_f64 v[18:19], v[130:131], v[142:143]
	v_fma_f64 v[64:65], v[8:9], s[30:31], v[10:11]
	v_add_f64 v[12:13], v[52:53], v[12:13]
	v_add_f64 v[134:135], v[134:135], v[136:137]
	v_add_f64 v[52:53], v[56:57], v[54:55]
	v_fma_f64 v[136:137], v[8:9], s[22:23], -v[138:139]
	v_fma_f64 v[138:139], v[8:9], s[22:23], v[138:139]
	v_fma_f64 v[56:57], v[8:9], s[10:11], -v[150:151]
	v_add_f64 v[75:76], v[154:155], v[75:76]
	v_fma_f64 v[8:9], v[8:9], s[30:31], -v[10:11]
	v_add_f64 v[4:5], v[6:7], v[4:5]
	v_add_f64 v[10:11], v[122:123], v[18:19]
	;; [unrolled: 1-line block ×5, first 2 shown]
	v_mul_lo_u32 v64, v74, 22
	v_add_f64 v[52:53], v[136:137], v[132:133]
	v_add_f64 v[56:57], v[56:57], v[75:76]
	;; [unrolled: 1-line block ×3, first 2 shown]
	v_or_b32_e32 v8, v64, v121
	v_lshlrev_b32_e32 v8, 3, v8
	v_add3_u32 v8, 0, v8, v116
	ds_write2_b64 v8, v[18:19], v[12:13] offset1:2
	ds_write2_b64 v8, v[10:11], v[6:7] offset0:4 offset1:6
	ds_write2_b64 v8, v[134:135], v[62:63] offset0:8 offset1:10
	;; [unrolled: 1-line block ×4, first 2 shown]
	ds_write_b64 v8, v[4:5] offset:160
.LBB0_18:
	s_or_b64 exec, exec, s[38:39]
	v_add_f64 v[4:5], v[0:1], v[110:111]
	v_add_f64 v[6:7], v[110:111], v[68:69]
	v_add_f64 v[8:9], v[108:109], -v[16:17]
	v_add_f64 v[10:11], v[96:97], v[14:15]
	s_mov_b32 s39, 0x3fe82f19
	s_mov_b32 s38, s18
	v_add_f64 v[12:13], v[104:105], -v[106:107]
	v_add_f64 v[16:17], v[94:95], v[92:93]
	v_add_f64 v[4:5], v[4:5], v[96:97]
	v_mul_f64 v[52:53], v[6:7], s[10:11]
	v_mul_f64 v[56:57], v[6:7], s[14:15]
	;; [unrolled: 1-line block ×5, first 2 shown]
	v_add_f64 v[18:19], v[98:99], -v[102:103]
	v_mul_f64 v[75:76], v[10:11], s[14:15]
	v_add_f64 v[4:5], v[4:5], v[94:95]
	v_mul_f64 v[94:95], v[10:11], s[22:23]
	v_mul_f64 v[96:97], v[10:11], s[30:31]
	;; [unrolled: 1-line block ×4, first 2 shown]
	v_fma_f64 v[108:109], v[8:9], s[34:35], v[52:53]
	v_fma_f64 v[52:53], v[8:9], s[4:5], v[52:53]
	;; [unrolled: 1-line block ×3, first 2 shown]
	v_add_f64 v[4:5], v[4:5], v[86:87]
	v_fma_f64 v[56:57], v[8:9], s[6:7], v[56:57]
	v_fma_f64 v[122:123], v[8:9], s[26:27], v[62:63]
	;; [unrolled: 1-line block ×7, first 2 shown]
	v_add_f64 v[4:5], v[4:5], v[80:81]
	v_mul_f64 v[102:103], v[16:17], s[20:21]
	v_fma_f64 v[8:9], v[12:13], s[36:37], v[75:76]
	v_fma_f64 v[134:135], v[12:13], s[4:5], v[10:11]
	;; [unrolled: 1-line block ×3, first 2 shown]
	v_add_f64 v[108:109], v[0:1], v[108:109]
	v_add_f64 v[52:53], v[0:1], v[52:53]
	;; [unrolled: 1-line block ×8, first 2 shown]
	v_mul_f64 v[104:105], v[16:17], s[30:31]
	v_mul_f64 v[106:107], v[16:17], s[14:15]
	v_fma_f64 v[75:76], v[12:13], s[6:7], v[75:76]
	v_add_f64 v[4:5], v[4:5], v[90:91]
	v_fma_f64 v[128:129], v[12:13], s[38:39], v[94:95]
	v_fma_f64 v[94:95], v[12:13], s[18:19], v[94:95]
	;; [unrolled: 1-line block ×7, first 2 shown]
	v_add_f64 v[4:5], v[4:5], v[92:93]
	v_add_f64 v[92:93], v[0:1], v[124:125]
	;; [unrolled: 1-line block ×9, first 2 shown]
	v_add_f64 v[82:83], v[82:83], -v[84:85]
	v_fma_f64 v[102:103], v[18:19], s[16:17], v[102:103]
	v_add_f64 v[0:1], v[10:11], v[0:1]
	v_add_f64 v[10:11], v[86:87], v[90:91]
	;; [unrolled: 1-line block ×3, first 2 shown]
	v_mul_f64 v[12:13], v[16:17], s[10:11]
	v_mul_f64 v[16:17], v[16:17], s[22:23]
	v_add_f64 v[94:95], v[4:5], v[68:69]
	v_fma_f64 v[4:5], v[18:19], s[28:29], v[104:105]
	v_fma_f64 v[68:69], v[18:19], s[6:7], v[106:107]
	;; [unrolled: 1-line block ×3, first 2 shown]
	v_mul_f64 v[84:85], v[10:11], s[22:23]
	v_add_f64 v[14:15], v[128:129], v[110:111]
	v_add_f64 v[62:63], v[96:97], v[62:63]
	;; [unrolled: 1-line block ×5, first 2 shown]
	v_fma_f64 v[52:53], v[18:19], s[36:37], v[106:107]
	v_fma_f64 v[86:87], v[18:19], s[34:35], v[12:13]
	v_add_f64 v[56:57], v[68:69], v[56:57]
	v_fma_f64 v[12:13], v[18:19], s[4:5], v[12:13]
	v_mul_f64 v[68:69], v[10:11], s[20:21]
	v_fma_f64 v[89:90], v[18:19], s[38:39], v[16:17]
	v_fma_f64 v[16:17], v[18:19], s[18:19], v[16:17]
	;; [unrolled: 1-line block ×3, first 2 shown]
	v_add_f64 v[14:15], v[136:137], v[14:15]
	v_add_f64 v[52:53], v[52:53], v[62:63]
	;; [unrolled: 1-line block ×4, first 2 shown]
	v_fma_f64 v[64:65], v[82:83], s[16:17], v[68:69]
	v_mul_f64 v[86:87], v[10:11], s[10:11]
	v_add_f64 v[8:9], v[102:103], v[8:9]
	v_add_f64 v[6:7], v[18:19], v[6:7]
	;; [unrolled: 1-line block ×3, first 2 shown]
	v_fma_f64 v[75:76], v[82:83], s[18:19], v[84:85]
	v_add_f64 v[0:1], v[16:17], v[0:1]
	v_mul_f64 v[16:17], v[10:11], s[30:31]
	v_add_f64 v[14:15], v[64:65], v[14:15]
	v_fma_f64 v[64:65], v[82:83], s[26:27], v[68:69]
	v_fma_f64 v[68:69], v[82:83], s[34:35], v[86:87]
	v_add_f64 v[70:71], v[78:79], -v[70:71]
	v_mul_f64 v[77:78], v[18:19], s[30:31]
	v_mul_f64 v[10:11], v[10:11], s[14:15]
	v_add_f64 v[8:9], v[75:76], v[8:9]
	v_fma_f64 v[75:76], v[82:83], s[28:29], v[16:17]
	v_add_f64 v[92:93], v[134:135], v[124:125]
	v_fma_f64 v[72:73], v[82:83], s[4:5], v[86:87]
	;; [unrolled: 2-line block ×3, first 2 shown]
	v_fma_f64 v[68:69], v[70:71], s[28:29], v[77:78]
	v_add_f64 v[4:5], v[64:65], v[4:5]
	v_fma_f64 v[64:65], v[82:83], s[6:7], v[10:11]
	v_fma_f64 v[10:11], v[82:83], s[36:37], v[10:11]
	v_add_f64 v[62:63], v[75:76], v[62:63]
	v_mul_f64 v[75:76], v[18:19], s[22:23]
	v_add_f64 v[84:85], v[89:90], v[92:93]
	v_add_f64 v[52:53], v[72:73], v[52:53]
	v_add_f64 v[79:80], v[68:69], v[6:7]
	v_mul_f64 v[6:7], v[18:19], s[20:21]
	v_add_f64 v[12:13], v[16:17], v[12:13]
	v_fma_f64 v[16:17], v[70:71], s[24:25], v[77:78]
	v_mul_f64 v[72:73], v[18:19], s[10:11]
	v_add_f64 v[0:1], v[10:11], v[0:1]
	v_mul_f64 v[10:11], v[18:19], s[14:15]
	v_fma_f64 v[18:19], v[70:71], s[38:39], v[75:76]
	v_fma_f64 v[68:69], v[70:71], s[18:19], v[75:76]
	;; [unrolled: 1-line block ×4, first 2 shown]
	v_add_f64 v[64:65], v[64:65], v[84:85]
	v_add_f64 v[81:82], v[16:17], v[8:9]
	v_fma_f64 v[8:9], v[70:71], s[4:5], v[72:73]
	v_fma_f64 v[16:17], v[70:71], s[34:35], v[72:73]
	;; [unrolled: 1-line block ×4, first 2 shown]
	v_add_f64 v[89:90], v[18:19], v[56:57]
	v_add_f64 v[104:105], v[6:7], v[0:1]
	v_lshlrev_b32_e32 v0, 3, v117
	v_add3_u32 v70, 0, v0, v116
	v_lshlrev_b32_e32 v0, 3, v118
	v_add3_u32 v71, 0, v0, v116
	v_lshlrev_b32_e32 v0, 3, v119
	v_add_f64 v[83:84], v[8:9], v[14:15]
	v_add_f64 v[96:97], v[72:73], v[62:63]
	;; [unrolled: 1-line block ×3, first 2 shown]
	v_add3_u32 v72, 0, v0, v116
	v_add_u32_e32 v75, 0x1000, v115
	v_add_u32_e32 v76, 0x1400, v115
	;; [unrolled: 1-line block ×4, first 2 shown]
	v_add_f64 v[85:86], v[16:17], v[4:5]
	v_add_f64 v[91:92], v[68:69], v[52:53]
	;; [unrolled: 1-line block ×3, first 2 shown]
	s_waitcnt lgkmcnt(0)
	s_barrier
	ds_read_b64 v[56:57], v114
	ds_read_b64 v[62:63], v71
	ds_read2_b64 v[4:7], v75 offset0:27 offset1:104
	ds_read2_b64 v[8:11], v76 offset0:53 offset1:130
	;; [unrolled: 1-line block ×3, first 2 shown]
	v_add3_u32 v73, 0, v120, v116
	ds_read_b64 v[64:65], v72
	ds_read_b64 v[0:1], v73
	ds_read2_b64 v[16:19], v78 offset0:39 offset1:193
	ds_read_b64 v[68:69], v70
	ds_read_b64 v[52:53], v115 offset:8008
	s_waitcnt lgkmcnt(0)
	s_barrier
	ds_write2_b64 v88, v[94:95], v[79:80] offset1:2
	ds_write2_b64 v88, v[83:84], v[89:90] offset0:4 offset1:6
	ds_write2_b64 v88, v[96:97], v[102:103] offset0:8 offset1:10
	;; [unrolled: 1-line block ×4, first 2 shown]
	ds_write_b64 v88, v[81:82] offset:160
	s_and_saveexec_b64 s[4:5], s[0:1]
	s_cbranch_execz .LBB0_20
; %bb.19:
	v_add_f64 v[79:80], v[2:3], v[66:67]
	v_add_f64 v[50:51], v[60:61], -v[50:51]
	v_add_f64 v[66:67], v[66:67], v[46:47]
	v_add_f64 v[54:55], v[58:59], -v[54:55]
	s_mov_b32 s14, 0x8764f0ba
	s_mov_b32 s15, 0x3feaeb8c
	;; [unrolled: 1-line block ×4, first 2 shown]
	v_add_f64 v[60:61], v[79:80], v[48:49]
	v_add_f64 v[48:49], v[48:49], v[44:45]
	s_mov_b32 s22, 0x640f44db
	s_mov_b32 s28, 0x7f775887
	;; [unrolled: 1-line block ×6, first 2 shown]
	v_add_f64 v[60:61], v[60:61], v[40:41]
	s_mov_b32 s29, 0xbfe4f49e
	s_mov_b32 s35, 0xbfeeb42a
	v_mul_f64 v[79:80], v[66:67], s[16:17]
	v_mul_f64 v[81:82], v[66:67], s[22:23]
	;; [unrolled: 1-line block ×4, first 2 shown]
	s_mov_b32 s10, 0x8eee2c13
	v_add_f64 v[60:61], v[60:61], v[32:33]
	s_mov_b32 s20, 0x43842ef
	s_mov_b32 s38, 0xbb3a28a1
	;; [unrolled: 1-line block ×7, first 2 shown]
	v_add_f64 v[58:59], v[60:61], v[26:27]
	v_mul_f64 v[60:61], v[66:67], s[14:15]
	v_mul_f64 v[66:67], v[66:67], s[34:35]
	s_mov_b32 s25, 0xbfefac9e
	s_mov_b32 s27, 0xbfe82f19
	;; [unrolled: 1-line block ×5, first 2 shown]
	v_add_f64 v[58:59], v[58:59], v[28:29]
	v_fma_f64 v[91:92], v[50:51], s[0:1], v[60:61]
	s_mov_b32 s18, s10
	s_mov_b32 s24, s20
	;; [unrolled: 1-line block ×4, first 2 shown]
	v_fma_f64 v[60:61], v[50:51], s[6:7], v[60:61]
	v_fma_f64 v[93:94], v[50:51], s[10:11], v[79:80]
	v_add_f64 v[58:59], v[58:59], v[36:37]
	v_fma_f64 v[79:80], v[50:51], s[18:19], v[79:80]
	v_fma_f64 v[95:96], v[50:51], s[20:21], v[81:82]
	;; [unrolled: 1-line block ×7, first 2 shown]
	v_add_f64 v[58:59], v[58:59], v[42:43]
	v_fma_f64 v[66:67], v[54:55], s[10:11], v[85:86]
	v_add_f64 v[91:92], v[2:3], v[91:92]
	v_mul_f64 v[87:88], v[48:49], s[28:29]
	v_mul_f64 v[89:90], v[48:49], s[34:35]
	v_fma_f64 v[85:86], v[54:55], s[18:19], v[85:86]
	v_add_f64 v[60:61], v[2:3], v[60:61]
	v_add_f64 v[79:80], v[2:3], v[79:80]
	;; [unrolled: 1-line block ×11, first 2 shown]
	v_mul_f64 v[66:67], v[48:49], s[22:23]
	v_add_f64 v[40:41], v[40:41], v[42:43]
	v_mul_f64 v[48:49], v[48:49], s[14:15]
	v_fma_f64 v[104:105], v[54:55], s[38:39], v[87:88]
	v_add_f64 v[44:45], v[44:45], v[46:47]
	v_fma_f64 v[46:47], v[54:55], s[26:27], v[87:88]
	v_add_f64 v[60:61], v[85:86], v[60:61]
	v_add_f64 v[20:21], v[38:39], -v[20:21]
	v_fma_f64 v[85:86], v[54:55], s[24:25], v[66:67]
	v_mul_f64 v[38:39], v[40:41], s[22:23]
	v_fma_f64 v[66:67], v[54:55], s[20:21], v[66:67]
	v_fma_f64 v[87:88], v[54:55], s[6:7], v[48:49]
	;; [unrolled: 1-line block ×3, first 2 shown]
	v_add_f64 v[46:47], v[46:47], v[79:80]
	v_fma_f64 v[79:80], v[54:55], s[30:31], v[89:90]
	v_mul_f64 v[89:90], v[40:41], s[34:35]
	v_fma_f64 v[48:49], v[54:55], s[0:1], v[48:49]
	v_fma_f64 v[54:55], v[20:21], s[20:21], v[38:39]
	v_add_f64 v[66:67], v[66:67], v[83:84]
	v_add_f64 v[83:84], v[87:88], v[97:98]
	v_mul_f64 v[87:88], v[40:41], s[16:17]
	v_add_f64 v[32:33], v[32:33], v[36:37]
	v_fma_f64 v[38:39], v[20:21], s[24:25], v[38:39]
	v_mul_f64 v[36:37], v[40:41], s[14:15]
	v_add_f64 v[58:59], v[104:105], v[58:59]
	v_add_f64 v[42:43], v[42:43], v[93:94]
	;; [unrolled: 1-line block ×4, first 2 shown]
	v_fma_f64 v[85:86], v[20:21], s[36:37], v[89:90]
	v_add_f64 v[2:3], v[48:49], v[2:3]
	v_add_f64 v[48:49], v[54:55], v[50:51]
	v_fma_f64 v[54:55], v[20:21], s[18:19], v[87:88]
	v_mul_f64 v[40:41], v[40:41], s[28:29]
	v_add_f64 v[30:31], v[30:31], -v[34:35]
	v_mul_f64 v[34:35], v[32:33], s[28:29]
	v_add_f64 v[38:39], v[38:39], v[60:61]
	v_fma_f64 v[60:61], v[20:21], s[0:1], v[36:37]
	v_fma_f64 v[89:90], v[20:21], s[30:31], v[89:90]
	v_add_f64 v[50:51], v[85:86], v[58:59]
	v_fma_f64 v[58:59], v[20:21], s[10:11], v[87:88]
	v_fma_f64 v[36:37], v[20:21], s[6:7], v[36:37]
	v_add_f64 v[42:43], v[54:55], v[42:43]
	v_mul_f64 v[54:55], v[32:33], s[22:23]
	v_fma_f64 v[85:86], v[20:21], s[38:39], v[40:41]
	v_fma_f64 v[20:21], v[20:21], s[26:27], v[40:41]
	;; [unrolled: 1-line block ×3, first 2 shown]
	v_add_f64 v[60:61], v[60:61], v[81:82]
	v_mul_f64 v[81:82], v[32:33], s[14:15]
	v_add_f64 v[36:37], v[36:37], v[66:67]
	v_fma_f64 v[34:35], v[30:31], s[26:27], v[34:35]
	v_fma_f64 v[66:67], v[30:31], s[24:25], v[54:55]
	v_add_f64 v[26:27], v[26:27], v[28:29]
	v_add_f64 v[2:3], v[20:21], v[2:3]
	;; [unrolled: 1-line block ×3, first 2 shown]
	v_mul_f64 v[40:41], v[32:33], s[34:35]
	v_fma_f64 v[28:29], v[30:31], s[0:1], v[81:82]
	v_mul_f64 v[32:33], v[32:33], s[16:17]
	v_add_f64 v[46:47], v[89:90], v[46:47]
	v_add_f64 v[58:59], v[58:59], v[79:80]
	v_fma_f64 v[48:49], v[30:31], s[20:21], v[54:55]
	v_add_f64 v[34:35], v[34:35], v[38:39]
	v_add_f64 v[38:39], v[66:67], v[50:51]
	v_fma_f64 v[50:51], v[30:31], s[6:7], v[81:82]
	v_fma_f64 v[54:55], v[30:31], s[30:31], v[40:41]
	;; [unrolled: 1-line block ×3, first 2 shown]
	v_add_f64 v[22:23], v[22:23], -v[24:25]
	v_mul_f64 v[24:25], v[26:27], s[34:35]
	v_add_f64 v[28:29], v[28:29], v[42:43]
	v_fma_f64 v[42:43], v[30:31], s[18:19], v[32:33]
	v_fma_f64 v[30:31], v[30:31], s[10:11], v[32:33]
	v_mul_f64 v[32:33], v[26:27], s[14:15]
	v_add_f64 v[46:47], v[48:49], v[46:47]
	v_add_f64 v[48:49], v[50:51], v[58:59]
	;; [unrolled: 1-line block ×4, first 2 shown]
	v_fma_f64 v[40:41], v[22:23], s[30:31], v[24:25]
	v_fma_f64 v[24:25], v[22:23], s[36:37], v[24:25]
	v_mul_f64 v[54:55], v[26:27], s[28:29]
	v_mul_f64 v[58:59], v[26:27], s[16:17]
	v_add_f64 v[79:80], v[85:86], v[83:84]
	v_add_f64 v[2:3], v[30:31], v[2:3]
	v_fma_f64 v[30:31], v[22:23], s[6:7], v[32:33]
	v_mul_f64 v[26:27], v[26:27], s[22:23]
	v_add_f64 v[20:21], v[40:41], v[20:21]
	v_add_f64 v[24:25], v[24:25], v[34:35]
	v_fma_f64 v[34:35], v[22:23], s[38:39], v[54:55]
	v_fma_f64 v[40:41], v[22:23], s[18:19], v[58:59]
	v_add_f64 v[42:43], v[42:43], v[79:80]
	v_fma_f64 v[58:59], v[22:23], s[10:11], v[58:59]
	v_add_f64 v[30:31], v[30:31], v[38:39]
	v_fma_f64 v[38:39], v[22:23], s[20:21], v[26:27]
	v_fma_f64 v[26:27], v[22:23], s[24:25], v[26:27]
	;; [unrolled: 1-line block ×4, first 2 shown]
	v_add_f64 v[28:29], v[34:35], v[28:29]
	v_add_f64 v[34:35], v[40:41], v[50:51]
	v_mul_lo_u32 v40, v74, 22
	v_add_f64 v[36:37], v[58:59], v[36:37]
	v_add_f64 v[38:39], v[38:39], v[42:43]
	;; [unrolled: 1-line block ×5, first 2 shown]
	v_or_b32_e32 v26, v40, v121
	v_lshlrev_b32_e32 v26, 3, v26
	v_add3_u32 v26, 0, v26, v116
	ds_write2_b64 v26, v[44:45], v[20:21] offset1:2
	ds_write2_b64 v26, v[30:31], v[28:29] offset0:4 offset1:6
	ds_write2_b64 v26, v[34:35], v[38:39] offset0:8 offset1:10
	;; [unrolled: 1-line block ×4, first 2 shown]
	ds_write_b64 v26, v[24:25] offset:160
.LBB0_20:
	s_or_b64 exec, exec, s[4:5]
	v_lshrrev_b16_e32 v2, 1, v112
	v_and_b32_e32 v2, 0x7f, v2
	v_mul_lo_u16_e32 v2, 0xbb, v2
	v_lshrrev_b16_e32 v74, 11, v2
	v_mul_lo_u16_e32 v2, 22, v74
	v_sub_u16_e32 v99, v112, v2
	v_mov_b32_e32 v2, 6
	v_mul_u32_u24_sdwa v3, v99, v2 dst_sel:DWORD dst_unused:UNUSED_PAD src0_sel:BYTE_0 src1_sel:DWORD
	v_lshlrev_b32_e32 v3, 4, v3
	s_waitcnt lgkmcnt(0)
	s_barrier
	global_load_dwordx4 v[20:23], v3, s[8:9] offset:336
	global_load_dwordx4 v[24:27], v3, s[8:9] offset:320
	;; [unrolled: 1-line block ×6, first 2 shown]
	v_lshrrev_b16_e32 v3, 1, v113
	v_and_b32_e32 v3, 0x7f, v3
	v_mul_lo_u16_e32 v3, 0xbb, v3
	v_lshrrev_b16_e32 v145, 11, v3
	v_mul_lo_u16_e32 v3, 22, v145
	v_sub_u16_e32 v146, v113, v3
	v_mul_u32_u24_sdwa v2, v146, v2 dst_sel:DWORD dst_unused:UNUSED_PAD src0_sel:BYTE_0 src1_sel:DWORD
	v_lshlrev_b32_e32 v2, 4, v2
	global_load_dwordx4 v[44:47], v2, s[8:9] offset:320
	global_load_dwordx4 v[48:51], v2, s[8:9] offset:336
	;; [unrolled: 1-line block ×6, first 2 shown]
	ds_read_b64 v[2:3], v114
	ds_read_b64 v[54:55], v71
	ds_read2_b64 v[91:94], v75 offset0:27 offset1:104
	ds_read2_b64 v[95:98], v76 offset0:53 offset1:130
	;; [unrolled: 1-line block ×3, first 2 shown]
	ds_read_b64 v[66:67], v72
	ds_read_b64 v[110:111], v73
	ds_read2_b64 v[106:109], v78 offset0:39 offset1:193
	ds_read_b64 v[117:118], v70
	ds_read_b64 v[119:120], v115 offset:8008
	s_mov_b32 s4, 0x37e14327
	s_mov_b32 s0, 0x36b3c0b5
	;; [unrolled: 1-line block ×20, first 2 shown]
	s_movk_i32 s26, 0x4d0
	s_waitcnt vmcnt(0) lgkmcnt(0)
	s_barrier
	v_mul_f64 v[123:124], v[54:55], v[22:23]
	v_mul_f64 v[121:122], v[117:118], v[26:27]
	;; [unrolled: 1-line block ×16, first 2 shown]
	v_fma_f64 v[68:69], v[68:69], v[24:25], v[121:122]
	v_fma_f64 v[24:25], v[117:118], v[24:25], -v[26:27]
	v_fma_f64 v[26:27], v[62:63], v[20:21], v[123:124]
	v_fma_f64 v[20:21], v[54:55], v[20:21], -v[22:23]
	;; [unrolled: 2-line block ×6, first 2 shown]
	v_fma_f64 v[36:37], v[106:107], v[44:45], -v[46:47]
	v_fma_f64 v[18:19], v[18:19], v[48:49], v[135:136]
	v_fma_f64 v[38:39], v[108:109], v[48:49], -v[50:51]
	v_mul_f64 v[137:138], v[91:92], v[60:61]
	v_mul_f64 v[60:61], v[4:5], v[60:61]
	v_add_f64 v[50:51], v[20:21], v[30:31]
	v_add_f64 v[46:47], v[68:69], v[14:15]
	;; [unrolled: 1-line block ×3, first 2 shown]
	v_add_f64 v[24:25], v[24:25], -v[34:35]
	v_add_f64 v[34:35], v[26:27], v[10:11]
	v_add_f64 v[14:15], v[68:69], -v[14:15]
	v_add_f64 v[10:11], v[26:27], -v[10:11]
	;; [unrolled: 1-line block ×3, first 2 shown]
	v_add_f64 v[26:27], v[22:23], v[6:7]
	v_add_f64 v[30:31], v[32:33], v[28:29]
	v_add_f64 v[6:7], v[6:7], -v[22:23]
	v_add_f64 v[22:23], v[28:29], -v[32:33]
	v_add_f64 v[28:29], v[34:35], v[46:47]
	v_add_f64 v[32:33], v[50:51], v[48:49]
	v_fma_f64 v[4:5], v[4:5], v[58:59], v[137:138]
	v_fma_f64 v[40:41], v[91:92], v[58:59], -v[60:61]
	v_add_f64 v[54:55], v[34:35], -v[46:47]
	v_add_f64 v[58:59], v[50:51], -v[48:49]
	;; [unrolled: 1-line block ×6, first 2 shown]
	v_add_f64 v[60:61], v[6:7], v[10:11]
	v_add_f64 v[62:63], v[22:23], v[20:21]
	v_add_f64 v[64:65], v[6:7], -v[10:11]
	v_add_f64 v[66:67], v[22:23], -v[20:21]
	;; [unrolled: 1-line block ×3, first 2 shown]
	v_add_f64 v[26:27], v[26:27], v[28:29]
	v_add_f64 v[28:29], v[30:31], v[32:33]
	v_add_f64 v[20:21], v[20:21], -v[24:25]
	v_add_f64 v[6:7], v[14:15], -v[6:7]
	;; [unrolled: 1-line block ×3, first 2 shown]
	v_add_f64 v[14:15], v[60:61], v[14:15]
	v_add_f64 v[24:25], v[62:63], v[24:25]
	v_mul_f64 v[30:31], v[46:47], s[4:5]
	v_mul_f64 v[32:33], v[48:49], s[4:5]
	;; [unrolled: 1-line block ×3, first 2 shown]
	v_add_f64 v[48:49], v[56:57], v[26:27]
	v_add_f64 v[56:57], v[2:3], v[28:29]
	v_mul_f64 v[2:3], v[50:51], s[0:1]
	v_mul_f64 v[60:61], v[64:65], s[20:21]
	;; [unrolled: 1-line block ×7, first 2 shown]
	v_fma_f64 v[26:27], v[26:27], s[14:15], v[48:49]
	v_fma_f64 v[28:29], v[28:29], s[14:15], v[56:57]
	;; [unrolled: 1-line block ×4, first 2 shown]
	v_fma_f64 v[46:47], v[54:55], s[10:11], -v[46:47]
	v_fma_f64 v[2:3], v[58:59], s[10:11], -v[2:3]
	;; [unrolled: 1-line block ×4, first 2 shown]
	v_fma_f64 v[54:55], v[6:7], s[24:25], v[60:61]
	v_fma_f64 v[58:59], v[22:23], s[24:25], v[62:63]
	v_fma_f64 v[10:11], v[10:11], s[6:7], -v[60:61]
	v_fma_f64 v[20:21], v[20:21], s[6:7], -v[62:63]
	;; [unrolled: 1-line block ×4, first 2 shown]
	v_mul_f64 v[85:86], v[12:13], v[85:86]
	v_mul_f64 v[89:90], v[52:53], v[89:90]
	;; [unrolled: 1-line block ×4, first 2 shown]
	v_fma_f64 v[16:17], v[16:17], v[44:45], v[133:134]
	v_fma_f64 v[12:13], v[12:13], v[83:84], v[141:142]
	v_add_f64 v[34:35], v[34:35], v[26:27]
	v_add_f64 v[50:51], v[50:51], v[28:29]
	;; [unrolled: 1-line block ×6, first 2 shown]
	v_fma_f64 v[32:33], v[14:15], s[18:19], v[54:55]
	v_fma_f64 v[22:23], v[24:25], s[18:19], v[22:23]
	;; [unrolled: 1-line block ×6, first 2 shown]
	v_fma_f64 v[44:45], v[102:103], v[83:84], -v[85:86]
	v_fma_f64 v[30:31], v[24:25], s[18:19], v[58:59]
	v_fma_f64 v[24:25], v[119:120], v[87:88], -v[89:90]
	v_fma_f64 v[8:9], v[8:9], v[79:80], v[139:140]
	v_fma_f64 v[42:43], v[95:96], v[79:80], -v[81:82]
	v_add_f64 v[58:59], v[22:23], v[26:27]
	v_add_f64 v[60:61], v[28:29], -v[6:7]
	v_add_f64 v[62:63], v[46:47], -v[20:21]
	v_add_f64 v[64:65], v[10:11], v[2:3]
	v_add_f64 v[20:21], v[20:21], v[46:47]
	v_add_f64 v[46:47], v[2:3], -v[10:11]
	v_add_f64 v[2:3], v[26:27], -v[22:23]
	v_add_f64 v[28:29], v[6:7], v[28:29]
	v_add_f64 v[6:7], v[16:17], v[14:15]
	;; [unrolled: 1-line block ×4, first 2 shown]
	v_add_f64 v[14:15], v[16:17], -v[14:15]
	v_add_f64 v[16:17], v[36:37], -v[24:25]
	v_add_f64 v[24:25], v[38:39], v[44:45]
	v_add_f64 v[12:13], v[18:19], -v[12:13]
	v_add_f64 v[18:19], v[38:39], -v[44:45]
	v_add_f64 v[26:27], v[4:5], v[8:9]
	v_add_f64 v[36:37], v[40:41], v[42:43]
	v_add_f64 v[4:5], v[8:9], -v[4:5]
	v_add_f64 v[8:9], v[42:43], -v[40:41]
	v_add_f64 v[38:39], v[22:23], v[6:7]
	v_add_f64 v[40:41], v[24:25], v[10:11]
	v_add_f64 v[42:43], v[22:23], -v[6:7]
	v_add_f64 v[44:45], v[24:25], -v[10:11]
	;; [unrolled: 1-line block ×6, first 2 shown]
	v_add_f64 v[66:67], v[4:5], v[12:13]
	v_add_f64 v[68:69], v[8:9], v[18:19]
	v_add_f64 v[79:80], v[4:5], -v[12:13]
	v_add_f64 v[81:82], v[8:9], -v[18:19]
	v_add_f64 v[26:27], v[26:27], v[38:39]
	v_add_f64 v[18:19], v[18:19], -v[16:17]
	v_add_f64 v[36:37], v[36:37], v[40:41]
	v_add_f64 v[12:13], v[12:13], -v[14:15]
	v_add_f64 v[4:5], v[14:15], -v[4:5]
	v_add_f64 v[8:9], v[16:17], -v[8:9]
	v_add_f64 v[14:15], v[66:67], v[14:15]
	v_add_f64 v[16:17], v[68:69], v[16:17]
	;; [unrolled: 1-line block ×3, first 2 shown]
	v_mul_f64 v[6:7], v[6:7], s[4:5]
	v_mul_f64 v[10:11], v[10:11], s[4:5]
	;; [unrolled: 1-line block ×7, first 2 shown]
	v_add_f64 v[38:39], v[110:111], v[36:37]
	v_mul_f64 v[81:82], v[12:13], s[6:7]
	v_fma_f64 v[26:27], v[26:27], s[14:15], v[0:1]
	v_fma_f64 v[22:23], v[22:23], s[0:1], v[6:7]
	;; [unrolled: 1-line block ×3, first 2 shown]
	v_fma_f64 v[40:41], v[42:43], s[10:11], -v[40:41]
	v_fma_f64 v[66:67], v[44:45], s[10:11], -v[66:67]
	v_fma_f64 v[6:7], v[42:43], s[16:17], -v[6:7]
	v_fma_f64 v[10:11], v[44:45], s[16:17], -v[10:11]
	v_fma_f64 v[44:45], v[8:9], s[24:25], v[79:80]
	v_fma_f64 v[18:19], v[18:19], s[6:7], -v[79:80]
	v_fma_f64 v[8:9], v[8:9], s[22:23], -v[83:84]
	v_fma_f64 v[36:37], v[36:37], s[14:15], v[38:39]
	v_fma_f64 v[42:43], v[4:5], s[24:25], v[68:69]
	v_fma_f64 v[12:13], v[12:13], s[6:7], -v[68:69]
	v_fma_f64 v[4:5], v[4:5], s[22:23], -v[81:82]
	v_add_f64 v[22:23], v[22:23], v[26:27]
	v_add_f64 v[40:41], v[40:41], v[26:27]
	;; [unrolled: 1-line block ×3, first 2 shown]
	v_fma_f64 v[26:27], v[16:17], s[18:19], v[44:45]
	v_fma_f64 v[8:9], v[16:17], s[18:19], v[8:9]
	;; [unrolled: 1-line block ×3, first 2 shown]
	v_add_f64 v[66:67], v[66:67], v[36:37]
	v_add_f64 v[10:11], v[10:11], v[36:37]
	v_fma_f64 v[4:5], v[14:15], s[18:19], v[4:5]
	v_fma_f64 v[12:13], v[14:15], s[18:19], v[12:13]
	v_add_f64 v[52:53], v[30:31], v[34:35]
	v_add_f64 v[24:25], v[24:25], v[36:37]
	v_fma_f64 v[36:37], v[14:15], s[18:19], v[42:43]
	v_add_f64 v[18:19], v[26:27], v[22:23]
	v_add_f64 v[14:15], v[34:35], -v[30:31]
	v_add_f64 v[34:35], v[8:9], v[6:7]
	v_add_f64 v[44:45], v[40:41], -v[16:17]
	;; [unrolled: 2-line block ×3, first 2 shown]
	v_add_f64 v[54:55], v[50:51], -v[32:33]
	v_add_f64 v[30:31], v[32:33], v[50:51]
	v_add_f64 v[42:43], v[10:11], -v[4:5]
	v_add_f64 v[50:51], v[12:13], v[66:67]
	;; [unrolled: 2-line block ×3, first 2 shown]
	v_add_f64 v[4:5], v[22:23], -v[26:27]
	v_mov_b32_e32 v9, 3
	v_mad_u32_u24 v8, v74, s26, 0
	v_lshlrev_b32_sdwa v10, v9, v99 dst_sel:DWORD dst_unused:UNUSED_PAD src0_sel:DWORD src1_sel:BYTE_0
	v_add3_u32 v68, v8, v10, v116
	ds_write2_b64 v68, v[48:49], v[52:53] offset1:22
	ds_write2_b64 v68, v[58:59], v[62:63] offset0:44 offset1:66
	ds_write2_b64 v68, v[20:21], v[2:3] offset0:88 offset1:110
	ds_write_b64 v68, v[14:15] offset:1056
	v_mad_u32_u24 v2, v145, s26, 0
	v_lshlrev_b32_sdwa v3, v9, v146 dst_sel:DWORD dst_unused:UNUSED_PAD src0_sel:DWORD src1_sel:BYTE_0
	v_add3_u32 v48, v2, v3, v116
	v_add_f64 v[32:33], v[24:25], -v[36:37]
	v_add_f64 v[36:37], v[36:37], v[24:25]
	ds_write2_b64 v48, v[0:1], v[18:19] offset1:22
	ds_write2_b64 v48, v[34:35], v[44:45] offset0:44 offset1:66
	ds_write2_b64 v48, v[16:17], v[6:7] offset0:88 offset1:110
	ds_write_b64 v48, v[4:5] offset:1056
	s_waitcnt lgkmcnt(0)
	s_barrier
	ds_read_b64 v[16:17], v114
	ds_read_b64 v[24:25], v71
	ds_read2_b64 v[0:3], v75 offset0:27 offset1:104
	ds_read2_b64 v[8:11], v76 offset0:53 offset1:130
	;; [unrolled: 1-line block ×3, first 2 shown]
	ds_read_b64 v[26:27], v72
	ds_read_b64 v[20:21], v73
	ds_read2_b64 v[12:15], v78 offset0:39 offset1:193
	ds_read_b64 v[18:19], v70
	ds_read_b64 v[22:23], v115 offset:8008
	s_waitcnt lgkmcnt(0)
	s_barrier
	ds_write2_b64 v68, v[56:57], v[54:55] offset1:22
	ds_write2_b64 v68, v[60:61], v[64:65] offset0:44 offset1:66
	ds_write2_b64 v68, v[46:47], v[28:29] offset0:88 offset1:110
	ds_write_b64 v68, v[30:31] offset:1056
	ds_write2_b64 v48, v[38:39], v[32:33] offset1:22
	ds_write2_b64 v48, v[42:43], v[50:51] offset0:44 offset1:66
	ds_write2_b64 v48, v[40:41], v[66:67] offset0:88 offset1:110
	ds_write_b64 v48, v[36:37] offset:1056
	s_waitcnt lgkmcnt(0)
	s_barrier
	s_and_saveexec_b64 s[26:27], vcc
	s_cbranch_execz .LBB0_22
; %bb.21:
	v_mul_i32_i24_e32 v28, 6, v113
	v_mov_b32_e32 v29, 0
	v_lshlrev_b64 v[52:53], 4, v[28:29]
	v_mov_b32_e32 v54, s9
	v_mul_u32_u24_e32 v28, 6, v112
	v_add_co_u32_e32 v68, vcc, s8, v52
	v_lshlrev_b32_e32 v55, 4, v28
	v_addc_co_u32_e32 v69, vcc, v54, v53, vcc
	global_load_dwordx4 v[28:31], v55, s[8:9] offset:2480
	global_load_dwordx4 v[32:35], v55, s[8:9] offset:2464
	;; [unrolled: 1-line block ×6, first 2 shown]
	s_nop 0
	global_load_dwordx4 v[52:55], v[68:69], off offset:2480
	global_load_dwordx4 v[56:59], v[68:69], off offset:2464
	;; [unrolled: 1-line block ×6, first 2 shown]
	v_add_u32_e32 v68, 0x1400, v115
	v_add_u32_e32 v82, 0x1000, v115
	;; [unrolled: 1-line block ×4, first 2 shown]
	ds_read_b64 v[94:95], v73
	ds_read_b64 v[72:73], v72
	;; [unrolled: 1-line block ×4, first 2 shown]
	ds_read_b64 v[102:103], v115 offset:8008
	ds_read_b64 v[104:105], v114
	ds_read2_b64 v[68:71], v68 offset0:53 offset1:130
	ds_read2_b64 v[82:85], v82 offset0:27 offset1:104
	ds_read2_b64 v[86:89], v86 offset0:39 offset1:193
	ds_read2_b64 v[90:93], v90 offset0:79 offset1:156
	s_waitcnt vmcnt(11)
	v_mul_f64 v[106:107], v[2:3], v[28:29]
	s_waitcnt vmcnt(10)
	v_mul_f64 v[108:109], v[26:27], v[32:33]
	s_waitcnt vmcnt(9)
	v_mul_f64 v[110:111], v[24:25], v[36:37]
	v_mul_f64 v[119:120], v[26:27], v[34:35]
	v_mul_f64 v[121:122], v[24:25], v[38:39]
	s_waitcnt vmcnt(5)
	v_mul_f64 v[24:25], v[8:9], v[52:53]
	s_waitcnt vmcnt(4)
	;; [unrolled: 2-line block ×6, first 2 shown]
	v_mul_f64 v[129:130], v[22:23], v[78:79]
	v_mul_f64 v[0:1], v[0:1], v[58:59]
	;; [unrolled: 1-line block ×7, first 2 shown]
	s_waitcnt lgkmcnt(3)
	v_fma_f64 v[24:25], v[68:69], v[54:55], v[24:25]
	s_waitcnt lgkmcnt(2)
	v_fma_f64 v[26:27], v[82:83], v[58:59], v[26:27]
	s_waitcnt lgkmcnt(1)
	v_fma_f64 v[54:55], v[88:89], v[62:63], v[123:124]
	s_waitcnt lgkmcnt(0)
	v_fma_f64 v[58:59], v[90:91], v[66:67], v[125:126]
	v_fma_f64 v[62:63], v[86:87], v[76:77], v[127:128]
	v_fma_f64 v[66:67], v[102:103], v[80:81], v[129:130]
	v_fma_f64 v[0:1], v[82:83], v[56:57], -v[0:1]
	v_fma_f64 v[8:9], v[68:69], v[52:53], -v[8:9]
	;; [unrolled: 1-line block ×6, first 2 shown]
	v_add_f64 v[60:61], v[24:25], -v[26:27]
	v_add_f64 v[64:65], v[54:55], -v[58:59]
	v_add_f64 v[24:25], v[24:25], v[26:27]
	v_add_f64 v[26:27], v[54:55], v[58:59]
	v_add_f64 v[54:55], v[62:63], v[66:67]
	v_add_f64 v[68:69], v[62:63], -v[66:67]
	v_add_f64 v[74:75], v[8:9], v[0:1]
	v_add_f64 v[76:77], v[14:15], v[4:5]
	;; [unrolled: 1-line block ×3, first 2 shown]
	v_add_f64 v[0:1], v[8:9], -v[0:1]
	v_add_f64 v[4:5], v[14:15], -v[4:5]
	;; [unrolled: 1-line block ×3, first 2 shown]
	v_add_f64 v[82:83], v[26:27], v[54:55]
	v_add_f64 v[12:13], v[60:61], v[64:65]
	v_add_f64 v[14:15], v[60:61], -v[64:65]
	v_add_f64 v[66:67], v[24:25], -v[26:27]
	v_add_f64 v[62:63], v[76:77], v[78:79]
	v_add_f64 v[80:81], v[54:55], -v[24:25]
	v_add_f64 v[86:87], v[0:1], v[4:5]
	v_add_f64 v[88:89], v[0:1], -v[4:5]
	v_add_f64 v[64:65], v[64:65], -v[68:69]
	;; [unrolled: 1-line block ×3, first 2 shown]
	v_add_f64 v[24:25], v[24:25], v[82:83]
	v_add_f64 v[22:23], v[68:69], -v[60:61]
	v_add_f64 v[58:59], v[74:75], -v[76:77]
	;; [unrolled: 1-line block ×5, first 2 shown]
	v_add_f64 v[54:55], v[12:13], v[68:69]
	v_mul_f64 v[68:69], v[14:15], s[20:21]
	v_add_f64 v[62:63], v[74:75], v[62:63]
	v_mul_f64 v[80:81], v[80:81], s[4:5]
	;; [unrolled: 2-line block ×3, first 2 shown]
	v_mul_f64 v[86:87], v[64:65], s[6:7]
	v_mul_f64 v[88:89], v[4:5], s[6:7]
	v_add_f64 v[12:13], v[20:21], v[24:25]
	v_mul_f64 v[113:114], v[10:11], v[48:49]
	v_mul_f64 v[115:116], v[18:19], v[40:41]
	;; [unrolled: 1-line block ×3, first 2 shown]
	v_add_f64 v[76:77], v[76:77], -v[78:79]
	v_mul_f64 v[78:79], v[58:59], s[0:1]
	v_mul_f64 v[60:61], v[60:61], s[4:5]
	;; [unrolled: 1-line block ×3, first 2 shown]
	v_fma_f64 v[90:91], v[22:23], s[24:25], v[68:69]
	v_add_f64 v[14:15], v[94:95], v[62:63]
	v_fma_f64 v[66:67], v[66:67], s[0:1], v[80:81]
	v_fma_f64 v[20:21], v[0:1], s[24:25], v[82:83]
	v_fma_f64 v[22:23], v[22:23], s[22:23], -v[86:87]
	v_fma_f64 v[80:81], v[26:27], s[16:17], -v[80:81]
	;; [unrolled: 1-line block ×5, first 2 shown]
	v_fma_f64 v[24:25], v[24:25], s[14:15], v[12:13]
	v_fma_f64 v[106:107], v[84:85], v[30:31], v[106:107]
	;; [unrolled: 1-line block ×8, first 2 shown]
	v_fma_f64 v[60:61], v[76:77], s[16:17], -v[60:61]
	v_fma_f64 v[76:77], v[76:77], s[10:11], -v[78:79]
	v_fma_f64 v[62:63], v[62:63], s[14:15], v[14:15]
	v_fma_f64 v[26:27], v[26:27], s[10:11], -v[74:75]
	v_fma_f64 v[68:69], v[54:55], s[18:19], v[90:91]
	v_fma_f64 v[74:75], v[8:9], s[18:19], v[20:21]
	;; [unrolled: 1-line block ×5, first 2 shown]
	v_add_f64 v[64:65], v[66:67], v[24:25]
	v_add_f64 v[66:67], v[80:81], v[24:25]
	v_fma_f64 v[80:81], v[8:9], s[18:19], v[4:5]
	v_mul_f64 v[8:9], v[10:11], v[50:51]
	v_mul_f64 v[10:11], v[18:19], v[42:43]
	;; [unrolled: 1-line block ×3, first 2 shown]
	v_add_f64 v[56:57], v[106:107], -v[34:35]
	v_add_f64 v[58:59], v[58:59], v[62:63]
	v_add_f64 v[60:61], v[60:61], v[62:63]
	v_add_f64 v[62:63], v[76:77], v[62:63]
	v_add_f64 v[76:77], v[38:39], -v[108:109]
	v_mul_f64 v[2:3], v[2:3], v[30:31]
	v_add_f64 v[42:43], v[110:111], -v[52:53]
	v_fma_f64 v[36:37], v[96:97], v[36:37], -v[121:122]
	v_fma_f64 v[46:47], v[70:71], v[48:49], -v[8:9]
	;; [unrolled: 1-line block ×4, first 2 shown]
	v_add_f64 v[4:5], v[62:63], -v[54:55]
	v_add_f64 v[18:19], v[56:57], -v[76:77]
	v_fma_f64 v[32:33], v[72:73], v[32:33], -v[119:120]
	v_fma_f64 v[28:29], v[84:85], v[28:29], -v[2:3]
	v_add_f64 v[8:9], v[54:55], v[62:63]
	v_add_f64 v[44:45], v[56:57], v[76:77]
	v_add_f64 v[50:51], v[42:43], -v[56:57]
	v_add_f64 v[54:55], v[36:37], v[46:47]
	v_add_f64 v[56:57], v[10:11], v[40:41]
	v_mul_f64 v[48:49], v[18:19], s[20:21]
	v_add_f64 v[38:39], v[38:39], v[108:109]
	v_add_f64 v[18:19], v[28:29], v[32:33]
	;; [unrolled: 1-line block ×4, first 2 shown]
	v_add_f64 v[32:33], v[28:29], -v[32:33]
	v_add_f64 v[36:37], v[36:37], -v[46:47]
	v_add_f64 v[62:63], v[54:55], v[56:57]
	v_add_f64 v[10:11], v[10:11], -v[40:41]
	v_add_f64 v[82:83], v[26:27], v[24:25]
	;; [unrolled: 2-line block ×3, first 2 shown]
	v_add_f64 v[44:45], v[44:45], v[42:43]
	v_add_f64 v[28:29], v[0:1], v[66:67]
	v_add_f64 v[0:1], v[56:57], -v[18:19]
	v_add_f64 v[46:47], v[18:19], v[62:63]
	v_add_f64 v[62:63], v[52:53], -v[34:35]
	v_add_f64 v[42:43], v[76:77], -v[42:43]
	v_add_f64 v[26:27], v[78:79], v[60:61]
	v_add_f64 v[30:31], v[60:61], -v[78:79]
	v_add_f64 v[66:67], v[34:35], v[72:73]
	v_add_f64 v[78:79], v[32:33], -v[36:37]
	v_add_f64 v[70:71], v[18:19], -v[54:55]
	;; [unrolled: 1-line block ×3, first 2 shown]
	v_mul_f64 v[40:41], v[62:63], s[4:5]
	v_add_f64 v[62:63], v[32:33], v[36:37]
	v_add_f64 v[36:37], v[36:37], -v[10:11]
	v_add_f64 v[2:3], v[80:81], v[82:83]
	v_add_f64 v[6:7], v[82:83], -v[80:81]
	v_mul_f64 v[0:1], v[0:1], s[4:5]
	v_add_f64 v[18:19], v[104:105], v[46:47]
	v_mul_f64 v[80:81], v[42:43], s[6:7]
	v_add_f64 v[54:55], v[54:55], -v[56:57]
	v_add_f64 v[16:17], v[16:17], v[66:67]
	v_mul_f64 v[78:79], v[78:79], s[20:21]
	v_add_f64 v[32:33], v[10:11], -v[32:33]
	v_add_f64 v[38:39], v[38:39], -v[52:53]
	v_mul_f64 v[52:53], v[36:37], s[6:7]
	v_mul_f64 v[72:73], v[70:71], s[0:1]
	v_fma_f64 v[76:77], v[34:35], s[0:1], v[40:41]
	v_mul_f64 v[34:35], v[34:35], s[0:1]
	v_fma_f64 v[60:61], v[50:51], s[24:25], v[48:49]
	v_fma_f64 v[70:71], v[70:71], s[0:1], v[0:1]
	;; [unrolled: 1-line block ×3, first 2 shown]
	v_fma_f64 v[50:51], v[50:51], s[22:23], -v[80:81]
	v_fma_f64 v[0:1], v[54:55], s[16:17], -v[0:1]
	v_fma_f64 v[66:67], v[66:67], s[14:15], v[16:17]
	v_add_f64 v[10:11], v[62:63], v[10:11]
	v_fma_f64 v[62:63], v[32:33], s[24:25], v[78:79]
	v_fma_f64 v[32:33], v[32:33], s[22:23], -v[52:53]
	v_fma_f64 v[52:53], v[54:55], s[10:11], -v[72:73]
	;; [unrolled: 1-line block ×5, first 2 shown]
	v_fma_f64 v[54:55], v[44:45], s[18:19], v[50:51]
	v_add_f64 v[0:1], v[0:1], v[46:47]
	v_add_f64 v[20:21], v[64:65], -v[74:75]
	v_add_f64 v[56:57], v[70:71], v[46:47]
	v_add_f64 v[70:71], v[76:77], v[66:67]
	v_fma_f64 v[76:77], v[10:11], s[18:19], v[32:33]
	v_add_f64 v[32:33], v[74:75], v[64:65]
	v_mad_u64_u32 v[64:65], s[0:1], s2, v112, 0
	v_fma_f64 v[60:61], v[44:45], s[18:19], v[60:61]
	v_fma_f64 v[62:63], v[10:11], s[18:19], v[62:63]
	v_add_f64 v[48:49], v[52:53], v[46:47]
	v_fma_f64 v[50:51], v[44:45], s[18:19], v[42:43]
	v_fma_f64 v[10:11], v[10:11], s[18:19], v[36:37]
	v_add_f64 v[52:53], v[34:35], v[66:67]
	v_add_f64 v[42:43], v[54:55], v[0:1]
	v_add_f64 v[54:55], v[0:1], -v[54:55]
	v_mov_b32_e32 v0, v65
	v_mad_u64_u32 v[0:1], s[0:1], s3, v112, v[0:1]
	v_add_f64 v[22:23], v[68:69], v[58:59]
	v_fma_f64 v[40:41], v[38:39], s[16:17], -v[40:41]
	v_add_f64 v[34:35], v[58:59], -v[68:69]
	v_add_f64 v[38:39], v[60:61], v[56:57]
	v_add_f64 v[36:37], v[70:71], -v[62:63]
	v_add_f64 v[46:47], v[48:49], -v[50:51]
	v_add_f64 v[44:45], v[10:11], v[52:53]
	v_add_f64 v[50:51], v[50:51], v[48:49]
	v_add_f64 v[48:49], v[52:53], -v[10:11]
	v_add_f64 v[58:59], v[56:57], -v[60:61]
	v_add_f64 v[56:57], v[62:63], v[70:71]
	v_mov_b32_e32 v65, v0
	v_mov_b32_e32 v10, s13
	v_add_co_u32_e32 v62, vcc, s12, v100
	v_add_u32_e32 v60, 0x9a, v112
	v_addc_co_u32_e32 v63, vcc, v10, v101, vcc
	v_lshlrev_b64 v[10:11], 4, v[64:65]
	v_mad_u64_u32 v[0:1], s[0:1], s2, v60, 0
	v_add_co_u32_e32 v10, vcc, v62, v10
	v_addc_co_u32_e32 v11, vcc, v63, v11, vcc
	global_store_dwordx4 v[10:11], v[16:19], off
	v_mad_u64_u32 v[60:61], s[0:1], s3, v60, v[1:2]
	v_add_u32_e32 v16, 0x134, v112
	v_mad_u64_u32 v[10:11], s[0:1], s2, v16, 0
	v_add_f64 v[72:73], v[40:41], v[66:67]
	v_mov_b32_e32 v1, v60
	v_mad_u64_u32 v[16:17], s[0:1], s3, v16, v[11:12]
	v_add_u32_e32 v19, 0x1ce, v112
	v_lshlrev_b64 v[0:1], 4, v[0:1]
	v_mad_u64_u32 v[17:18], s[0:1], s2, v19, 0
	v_add_co_u32_e32 v0, vcc, v62, v0
	v_addc_co_u32_e32 v1, vcc, v63, v1, vcc
	v_mov_b32_e32 v11, v16
	global_store_dwordx4 v[0:1], v[56:59], off
	v_lshlrev_b64 v[0:1], 4, v[10:11]
	v_mov_b32_e32 v10, v18
	v_add_f64 v[52:53], v[76:77], v[72:73]
	v_mad_u64_u32 v[10:11], s[0:1], s3, v19, v[10:11]
	v_add_u32_e32 v16, 0x268, v112
	v_add_co_u32_e32 v0, vcc, v62, v0
	v_mov_b32_e32 v18, v10
	v_mad_u64_u32 v[10:11], s[0:1], s2, v16, 0
	v_addc_co_u32_e32 v1, vcc, v63, v1, vcc
	global_store_dwordx4 v[0:1], v[52:55], off
	v_lshlrev_b64 v[0:1], 4, v[17:18]
	v_mad_u64_u32 v[16:17], s[0:1], s3, v16, v[11:12]
	v_add_u32_e32 v19, 0x302, v112
	v_mad_u64_u32 v[17:18], s[0:1], s2, v19, 0
	v_add_co_u32_e32 v0, vcc, v62, v0
	v_addc_co_u32_e32 v1, vcc, v63, v1, vcc
	v_mov_b32_e32 v11, v16
	global_store_dwordx4 v[0:1], v[48:51], off
	v_lshlrev_b64 v[0:1], 4, v[10:11]
	v_mov_b32_e32 v10, v18
	v_mad_u64_u32 v[10:11], s[0:1], s3, v19, v[10:11]
	v_add_co_u32_e32 v0, vcc, v62, v0
	v_add_u32_e32 v16, 0x39c, v112
	v_addc_co_u32_e32 v1, vcc, v63, v1, vcc
	v_mov_b32_e32 v18, v10
	v_mad_u64_u32 v[10:11], s[0:1], s2, v16, 0
	global_store_dwordx4 v[0:1], v[44:47], off
	v_lshlrev_b64 v[0:1], 4, v[17:18]
	v_add_u32_e32 v18, 0x4d, v112
	s_mov_b32 s0, 0x3531dec1
	v_mul_hi_u32 v19, v18, s0
	v_add_f64 v[40:41], v[72:73], -v[76:77]
	s_movk_i32 s4, 0x39c
	v_mad_u64_u32 v[16:17], s[0:1], s3, v16, v[11:12]
	v_lshrrev_b32_e32 v11, 5, v19
	v_mad_u32_u24 v19, v11, s4, v18
	v_mad_u64_u32 v[17:18], s[0:1], s2, v19, 0
	v_add_co_u32_e32 v0, vcc, v62, v0
	v_addc_co_u32_e32 v1, vcc, v63, v1, vcc
	v_mov_b32_e32 v11, v16
	global_store_dwordx4 v[0:1], v[40:43], off
	v_lshlrev_b64 v[0:1], 4, v[10:11]
	v_mov_b32_e32 v10, v18
	v_mad_u64_u32 v[10:11], s[0:1], s3, v19, v[10:11]
	v_add_u32_e32 v16, 0x9a, v19
	v_add_co_u32_e32 v0, vcc, v62, v0
	v_mov_b32_e32 v18, v10
	v_mad_u64_u32 v[10:11], s[0:1], s2, v16, 0
	v_addc_co_u32_e32 v1, vcc, v63, v1, vcc
	global_store_dwordx4 v[0:1], v[36:39], off
	v_lshlrev_b64 v[0:1], 4, v[17:18]
	v_mad_u64_u32 v[16:17], s[0:1], s3, v16, v[11:12]
	v_add_u32_e32 v36, 0x134, v19
	v_mad_u64_u32 v[17:18], s[0:1], s2, v36, 0
	v_add_co_u32_e32 v0, vcc, v62, v0
	v_addc_co_u32_e32 v1, vcc, v63, v1, vcc
	v_mov_b32_e32 v11, v16
	global_store_dwordx4 v[0:1], v[12:15], off
	v_lshlrev_b64 v[0:1], 4, v[10:11]
	v_mov_b32_e32 v10, v18
	v_mad_u64_u32 v[10:11], s[0:1], s3, v36, v[10:11]
	v_add_u32_e32 v12, 0x1ce, v19
	v_add_co_u32_e32 v0, vcc, v62, v0
	v_mov_b32_e32 v18, v10
	v_mad_u64_u32 v[10:11], s[0:1], s2, v12, 0
	v_addc_co_u32_e32 v1, vcc, v63, v1, vcc
	global_store_dwordx4 v[0:1], v[32:35], off
	v_lshlrev_b64 v[0:1], 4, v[17:18]
	v_mad_u64_u32 v[11:12], s[0:1], s3, v12, v[11:12]
	v_add_co_u32_e32 v0, vcc, v62, v0
	v_addc_co_u32_e32 v1, vcc, v63, v1, vcc
	v_add_u32_e32 v14, 0x268, v19
	v_mad_u64_u32 v[12:13], s[0:1], s2, v14, 0
	global_store_dwordx4 v[0:1], v[28:31], off
	v_lshlrev_b64 v[0:1], 4, v[10:11]
	v_mov_b32_e32 v10, v13
	v_add_co_u32_e32 v0, vcc, v62, v0
	v_addc_co_u32_e32 v1, vcc, v63, v1, vcc
	global_store_dwordx4 v[0:1], v[6:9], off
	v_mad_u64_u32 v[10:11], s[0:1], s3, v14, v[10:11]
	v_add_u32_e32 v8, 0x302, v19
	v_mad_u64_u32 v[6:7], s[0:1], s2, v8, 0
	v_mov_b32_e32 v13, v10
	v_add_u32_e32 v10, 0x39c, v19
	v_mad_u64_u32 v[7:8], s[0:1], s3, v8, v[7:8]
	v_lshlrev_b64 v[0:1], 4, v[12:13]
	v_mad_u64_u32 v[8:9], s[0:1], s2, v10, 0
	v_add_co_u32_e32 v0, vcc, v62, v0
	v_addc_co_u32_e32 v1, vcc, v63, v1, vcc
	global_store_dwordx4 v[0:1], v[2:5], off
	v_lshlrev_b64 v[0:1], 4, v[6:7]
	v_mov_b32_e32 v2, v9
	v_mad_u64_u32 v[2:3], s[0:1], s3, v10, v[2:3]
	v_add_co_u32_e32 v0, vcc, v62, v0
	v_addc_co_u32_e32 v1, vcc, v63, v1, vcc
	v_mov_b32_e32 v9, v2
	global_store_dwordx4 v[0:1], v[24:27], off
	v_lshlrev_b64 v[0:1], 4, v[8:9]
	v_add_co_u32_e32 v0, vcc, v62, v0
	v_addc_co_u32_e32 v1, vcc, v63, v1, vcc
	global_store_dwordx4 v[0:1], v[20:23], off
.LBB0_22:
	s_endpgm
	.section	.rodata,"a",@progbits
	.p2align	6, 0x0
	.amdhsa_kernel fft_rtc_back_len1078_factors_2_11_7_7_wgs_231_tpt_77_halfLds_dp_ip_CI_sbrr_dirReg
		.amdhsa_group_segment_fixed_size 0
		.amdhsa_private_segment_fixed_size 0
		.amdhsa_kernarg_size 88
		.amdhsa_user_sgpr_count 6
		.amdhsa_user_sgpr_private_segment_buffer 1
		.amdhsa_user_sgpr_dispatch_ptr 0
		.amdhsa_user_sgpr_queue_ptr 0
		.amdhsa_user_sgpr_kernarg_segment_ptr 1
		.amdhsa_user_sgpr_dispatch_id 0
		.amdhsa_user_sgpr_flat_scratch_init 0
		.amdhsa_user_sgpr_private_segment_size 0
		.amdhsa_uses_dynamic_stack 0
		.amdhsa_system_sgpr_private_segment_wavefront_offset 0
		.amdhsa_system_sgpr_workgroup_id_x 1
		.amdhsa_system_sgpr_workgroup_id_y 0
		.amdhsa_system_sgpr_workgroup_id_z 0
		.amdhsa_system_sgpr_workgroup_info 0
		.amdhsa_system_vgpr_workitem_id 0
		.amdhsa_next_free_vgpr 227
		.amdhsa_next_free_sgpr 40
		.amdhsa_reserve_vcc 1
		.amdhsa_reserve_flat_scratch 0
		.amdhsa_float_round_mode_32 0
		.amdhsa_float_round_mode_16_64 0
		.amdhsa_float_denorm_mode_32 3
		.amdhsa_float_denorm_mode_16_64 3
		.amdhsa_dx10_clamp 1
		.amdhsa_ieee_mode 1
		.amdhsa_fp16_overflow 0
		.amdhsa_exception_fp_ieee_invalid_op 0
		.amdhsa_exception_fp_denorm_src 0
		.amdhsa_exception_fp_ieee_div_zero 0
		.amdhsa_exception_fp_ieee_overflow 0
		.amdhsa_exception_fp_ieee_underflow 0
		.amdhsa_exception_fp_ieee_inexact 0
		.amdhsa_exception_int_div_zero 0
	.end_amdhsa_kernel
	.text
.Lfunc_end0:
	.size	fft_rtc_back_len1078_factors_2_11_7_7_wgs_231_tpt_77_halfLds_dp_ip_CI_sbrr_dirReg, .Lfunc_end0-fft_rtc_back_len1078_factors_2_11_7_7_wgs_231_tpt_77_halfLds_dp_ip_CI_sbrr_dirReg
                                        ; -- End function
	.section	.AMDGPU.csdata,"",@progbits
; Kernel info:
; codeLenInByte = 14396
; NumSgprs: 44
; NumVgprs: 227
; ScratchSize: 0
; MemoryBound: 1
; FloatMode: 240
; IeeeMode: 1
; LDSByteSize: 0 bytes/workgroup (compile time only)
; SGPRBlocks: 5
; VGPRBlocks: 56
; NumSGPRsForWavesPerEU: 44
; NumVGPRsForWavesPerEU: 227
; Occupancy: 1
; WaveLimiterHint : 1
; COMPUTE_PGM_RSRC2:SCRATCH_EN: 0
; COMPUTE_PGM_RSRC2:USER_SGPR: 6
; COMPUTE_PGM_RSRC2:TRAP_HANDLER: 0
; COMPUTE_PGM_RSRC2:TGID_X_EN: 1
; COMPUTE_PGM_RSRC2:TGID_Y_EN: 0
; COMPUTE_PGM_RSRC2:TGID_Z_EN: 0
; COMPUTE_PGM_RSRC2:TIDIG_COMP_CNT: 0
	.type	__hip_cuid_dac425b28c1de5a9,@object ; @__hip_cuid_dac425b28c1de5a9
	.section	.bss,"aw",@nobits
	.globl	__hip_cuid_dac425b28c1de5a9
__hip_cuid_dac425b28c1de5a9:
	.byte	0                               ; 0x0
	.size	__hip_cuid_dac425b28c1de5a9, 1

	.ident	"AMD clang version 19.0.0git (https://github.com/RadeonOpenCompute/llvm-project roc-6.4.0 25133 c7fe45cf4b819c5991fe208aaa96edf142730f1d)"
	.section	".note.GNU-stack","",@progbits
	.addrsig
	.addrsig_sym __hip_cuid_dac425b28c1de5a9
	.amdgpu_metadata
---
amdhsa.kernels:
  - .args:
      - .actual_access:  read_only
        .address_space:  global
        .offset:         0
        .size:           8
        .value_kind:     global_buffer
      - .offset:         8
        .size:           8
        .value_kind:     by_value
      - .actual_access:  read_only
        .address_space:  global
        .offset:         16
        .size:           8
        .value_kind:     global_buffer
      - .actual_access:  read_only
        .address_space:  global
        .offset:         24
        .size:           8
        .value_kind:     global_buffer
      - .offset:         32
        .size:           8
        .value_kind:     by_value
      - .actual_access:  read_only
        .address_space:  global
        .offset:         40
        .size:           8
        .value_kind:     global_buffer
      - .actual_access:  read_only
        .address_space:  global
        .offset:         48
        .size:           8
        .value_kind:     global_buffer
      - .offset:         56
        .size:           4
        .value_kind:     by_value
      - .actual_access:  read_only
        .address_space:  global
        .offset:         64
        .size:           8
        .value_kind:     global_buffer
      - .actual_access:  read_only
        .address_space:  global
        .offset:         72
        .size:           8
        .value_kind:     global_buffer
      - .address_space:  global
        .offset:         80
        .size:           8
        .value_kind:     global_buffer
    .group_segment_fixed_size: 0
    .kernarg_segment_align: 8
    .kernarg_segment_size: 88
    .language:       OpenCL C
    .language_version:
      - 2
      - 0
    .max_flat_workgroup_size: 231
    .name:           fft_rtc_back_len1078_factors_2_11_7_7_wgs_231_tpt_77_halfLds_dp_ip_CI_sbrr_dirReg
    .private_segment_fixed_size: 0
    .sgpr_count:     44
    .sgpr_spill_count: 0
    .symbol:         fft_rtc_back_len1078_factors_2_11_7_7_wgs_231_tpt_77_halfLds_dp_ip_CI_sbrr_dirReg.kd
    .uniform_work_group_size: 1
    .uses_dynamic_stack: false
    .vgpr_count:     227
    .vgpr_spill_count: 0
    .wavefront_size: 64
amdhsa.target:   amdgcn-amd-amdhsa--gfx906
amdhsa.version:
  - 1
  - 2
...

	.end_amdgpu_metadata
